;; amdgpu-corpus repo=ROCm/rocFFT kind=compiled arch=gfx906 opt=O3
	.text
	.amdgcn_target "amdgcn-amd-amdhsa--gfx906"
	.amdhsa_code_object_version 6
	.protected	bluestein_single_back_len1485_dim1_half_op_CI_CI ; -- Begin function bluestein_single_back_len1485_dim1_half_op_CI_CI
	.globl	bluestein_single_back_len1485_dim1_half_op_CI_CI
	.p2align	8
	.type	bluestein_single_back_len1485_dim1_half_op_CI_CI,@function
bluestein_single_back_len1485_dim1_half_op_CI_CI: ; @bluestein_single_back_len1485_dim1_half_op_CI_CI
; %bb.0:
	s_load_dwordx4 s[16:19], s[4:5], 0x28
	v_mul_u32_u24_e32 v1, 0x18e, v0
	v_add_u32_sdwa v16, s6, v1 dst_sel:DWORD dst_unused:UNUSED_PAD src0_sel:DWORD src1_sel:WORD_1
	v_mov_b32_e32 v17, 0
	s_waitcnt lgkmcnt(0)
	v_cmp_gt_u64_e32 vcc, s[16:17], v[16:17]
	s_and_saveexec_b64 s[0:1], vcc
	s_cbranch_execz .LBB0_18
; %bb.1:
	s_load_dwordx4 s[0:3], s[4:5], 0x18
	s_load_dwordx4 s[12:15], s[4:5], 0x0
	v_mov_b32_e32 v8, 0xfffff31c
	s_load_dwordx2 s[4:5], s[4:5], 0x38
                                        ; implicit-def: $vgpr20
                                        ; implicit-def: $vgpr22
	s_waitcnt lgkmcnt(0)
	s_load_dwordx4 s[8:11], s[0:1], 0x0
	s_movk_i32 s0, 0xa5
	v_mul_lo_u16_sdwa v1, v1, s0 dst_sel:DWORD dst_unused:UNUSED_PAD src0_sel:WORD_1 src1_sel:DWORD
	v_sub_u16_e32 v40, v0, v1
	v_lshlrev_b32_e32 v31, 2, v40
	s_waitcnt lgkmcnt(0)
	v_mad_u64_u32 v[0:1], s[6:7], s10, v16, 0
	v_mad_u64_u32 v[2:3], s[6:7], s8, v40, 0
	s_mul_i32 s1, s9, 0x7bc
	s_mul_i32 s10, s8, 0x7bc
	v_mad_u64_u32 v[4:5], s[6:7], s11, v16, v[1:2]
	s_movk_i32 s11, 0x1000
	v_mad_u64_u32 v[5:6], s[6:7], s9, v40, v[3:4]
	v_mov_b32_e32 v1, v4
	v_lshlrev_b64 v[0:1], 2, v[0:1]
	v_mov_b32_e32 v6, s19
	v_mov_b32_e32 v3, v5
	v_add_co_u32_e32 v4, vcc, s18, v0
	v_addc_co_u32_e32 v5, vcc, v6, v1, vcc
	v_lshlrev_b64 v[0:1], 2, v[2:3]
	v_mov_b32_e32 v2, s13
	v_add_co_u32_e32 v0, vcc, v4, v0
	v_addc_co_u32_e32 v1, vcc, v5, v1, vcc
	v_add_co_u32_e32 v4, vcc, s12, v31
	s_mul_hi_u32 s6, s8, 0x7bc
	v_addc_co_u32_e32 v5, vcc, 0, v2, vcc
	s_add_i32 s1, s6, s1
	v_mov_b32_e32 v3, s1
	v_add_co_u32_e32 v2, vcc, s10, v0
	v_addc_co_u32_e32 v3, vcc, v1, v3, vcc
	global_load_dword v6, v[0:1], off
	global_load_dword v7, v[2:3], off
	global_load_dword v39, v31, s[12:13] offset:1980
	v_mov_b32_e32 v1, s1
	global_load_dword v41, v31, s[12:13]
	global_load_dword v38, v31, s[12:13] offset:3960
	v_add_co_u32_e32 v0, vcc, s10, v2
	v_addc_co_u32_e32 v1, vcc, v3, v1, vcc
	v_mad_u64_u32 v[2:3], s[6:7], s8, v8, v[0:1]
	s_mul_i32 s6, s9, 0xfffff31c
	s_sub_i32 s9, s6, s8
	v_add_u32_e32 v3, s9, v3
	global_load_dword v9, v[2:3], off
	global_load_dword v37, v31, s[12:13] offset:660
	global_load_dword v10, v[0:1], off
	v_mov_b32_e32 v1, s1
	v_add_co_u32_e32 v0, vcc, s10, v2
	v_addc_co_u32_e32 v1, vcc, v3, v1, vcc
	global_load_dword v11, v[0:1], off
	global_load_dword v36, v31, s[12:13] offset:2640
	v_mov_b32_e32 v2, s1
	v_add_co_u32_e32 v0, vcc, s10, v0
	v_addc_co_u32_e32 v1, vcc, v1, v2, vcc
	global_load_dword v12, v[0:1], off
	v_mad_u64_u32 v[0:1], s[6:7], s8, v8, v[0:1]
	v_add_co_u32_e32 v2, vcc, s11, v4
	v_addc_co_u32_e32 v3, vcc, 0, v5, vcc
	global_load_dword v35, v[2:3], off offset:524
	v_add_u32_e32 v1, s9, v1
	global_load_dword v4, v[0:1], off
	global_load_dword v33, v31, s[12:13] offset:3300
	global_load_dword v34, v31, s[12:13] offset:1320
	v_mov_b32_e32 v5, s1
	v_add_co_u32_e32 v0, vcc, s10, v0
	v_addc_co_u32_e32 v1, vcc, v1, v5, vcc
	global_load_dword v5, v[0:1], off
	v_mov_b32_e32 v8, s1
	v_add_co_u32_e32 v0, vcc, s10, v0
	v_addc_co_u32_e32 v1, vcc, v1, v8, vcc
	global_load_dword v8, v[0:1], off
	global_load_dword v32, v[2:3], off offset:1184
	s_load_dwordx4 s[8:11], s[2:3], 0x0
	s_movk_i32 s1, 0x3aee
	s_mov_b32 s2, 0xffff
	v_add_co_u32_e32 v48, vcc, s0, v40
	s_movk_i32 s0, 0x14a
	v_add_co_u32_e32 v49, vcc, s0, v40
	s_movk_i32 s0, 0x84
	v_cmp_gt_u16_e32 vcc, s0, v40
	s_waitcnt vmcnt(17)
	v_lshrrev_b32_e32 v0, 16, v6
	s_waitcnt vmcnt(15)
	v_mul_f16_sdwa v3, v39, v7 dst_sel:DWORD dst_unused:UNUSED_PAD src0_sel:WORD_1 src1_sel:DWORD
	s_waitcnt vmcnt(14)
	v_mul_f16_sdwa v1, v41, v6 dst_sel:DWORD dst_unused:UNUSED_PAD src0_sel:WORD_1 src1_sel:DWORD
	v_fma_f16 v1, v41, v0, -v1
	v_mul_f16_sdwa v0, v41, v0 dst_sel:DWORD dst_unused:UNUSED_PAD src0_sel:WORD_1 src1_sel:DWORD
	v_fma_f16 v0, v41, v6, v0
	v_pack_b32_f16 v0, v0, v1
	v_lshrrev_b32_e32 v1, 16, v7
	v_mul_f16_sdwa v2, v39, v1 dst_sel:DWORD dst_unused:UNUSED_PAD src0_sel:WORD_1 src1_sel:DWORD
	v_fma_f16 v2, v39, v7, v2
	v_fma_f16 v1, v39, v1, -v3
	v_pack_b32_f16 v1, v2, v1
	ds_write_b32 v31, v1 offset:1980
	s_waitcnt vmcnt(10)
	v_lshrrev_b32_e32 v1, 16, v10
	v_mul_f16_sdwa v2, v38, v1 dst_sel:DWORD dst_unused:UNUSED_PAD src0_sel:WORD_1 src1_sel:DWORD
	v_mul_f16_sdwa v3, v38, v10 dst_sel:DWORD dst_unused:UNUSED_PAD src0_sel:WORD_1 src1_sel:DWORD
	v_fma_f16 v2, v38, v10, v2
	v_fma_f16 v1, v38, v1, -v3
	v_pack_b32_f16 v1, v2, v1
	ds_write_b32 v31, v1 offset:3960
	v_lshrrev_b32_e32 v1, 16, v9
	v_mul_f16_sdwa v2, v37, v1 dst_sel:DWORD dst_unused:UNUSED_PAD src0_sel:WORD_1 src1_sel:DWORD
	v_mul_f16_sdwa v3, v37, v9 dst_sel:DWORD dst_unused:UNUSED_PAD src0_sel:WORD_1 src1_sel:DWORD
	v_fma_f16 v2, v37, v9, v2
	v_fma_f16 v1, v37, v1, -v3
	v_pack_b32_f16 v1, v2, v1
	ds_write2_b32 v31, v0, v1 offset1:165
	s_waitcnt vmcnt(9)
	v_lshrrev_b32_e32 v0, 16, v11
	s_waitcnt vmcnt(8)
	v_mul_f16_sdwa v1, v36, v0 dst_sel:DWORD dst_unused:UNUSED_PAD src0_sel:WORD_1 src1_sel:DWORD
	v_mul_f16_sdwa v2, v36, v11 dst_sel:DWORD dst_unused:UNUSED_PAD src0_sel:WORD_1 src1_sel:DWORD
	v_fma_f16 v1, v36, v11, v1
	v_fma_f16 v0, v36, v0, -v2
	v_pack_b32_f16 v0, v1, v0
	s_waitcnt vmcnt(7)
	v_lshrrev_b32_e32 v1, 16, v12
	s_waitcnt vmcnt(6)
	v_mul_f16_sdwa v2, v35, v1 dst_sel:DWORD dst_unused:UNUSED_PAD src0_sel:WORD_1 src1_sel:DWORD
	v_mul_f16_sdwa v3, v35, v12 dst_sel:DWORD dst_unused:UNUSED_PAD src0_sel:WORD_1 src1_sel:DWORD
	v_fma_f16 v2, v35, v12, v2
	v_fma_f16 v1, v35, v1, -v3
	v_pack_b32_f16 v1, v2, v1
	s_waitcnt vmcnt(5)
	v_lshrrev_b32_e32 v2, 16, v4
	s_waitcnt vmcnt(3)
	v_mul_f16_sdwa v3, v34, v2 dst_sel:DWORD dst_unused:UNUSED_PAD src0_sel:WORD_1 src1_sel:DWORD
	v_fma_f16 v3, v34, v4, v3
	v_mul_f16_sdwa v4, v34, v4 dst_sel:DWORD dst_unused:UNUSED_PAD src0_sel:WORD_1 src1_sel:DWORD
	v_fma_f16 v2, v34, v2, -v4
	v_pack_b32_f16 v2, v3, v2
	ds_write_b32 v31, v2 offset:1320
	s_waitcnt vmcnt(2)
	v_lshrrev_b32_e32 v2, 16, v5
	v_mul_f16_sdwa v3, v33, v2 dst_sel:DWORD dst_unused:UNUSED_PAD src0_sel:WORD_1 src1_sel:DWORD
	v_mul_f16_sdwa v4, v33, v5 dst_sel:DWORD dst_unused:UNUSED_PAD src0_sel:WORD_1 src1_sel:DWORD
	v_fma_f16 v3, v33, v5, v3
	v_fma_f16 v2, v33, v2, -v4
	v_pack_b32_f16 v2, v3, v2
	v_add_u32_e32 v6, 0xa00, v31
	ds_write2_b32 v6, v0, v2 offset0:20 offset1:185
	s_waitcnt vmcnt(1)
	v_lshrrev_b32_e32 v0, 16, v8
	s_waitcnt vmcnt(0)
	v_mul_f16_sdwa v2, v32, v0 dst_sel:DWORD dst_unused:UNUSED_PAD src0_sel:WORD_1 src1_sel:DWORD
	v_mul_f16_sdwa v3, v32, v8 dst_sel:DWORD dst_unused:UNUSED_PAD src0_sel:WORD_1 src1_sel:DWORD
	v_fma_f16 v2, v32, v8, v2
	v_fma_f16 v0, v32, v0, -v3
	v_pack_b32_f16 v0, v2, v0
	v_add_u32_e32 v2, 0x1200, v31
	ds_write2_b32 v2, v1, v0 offset0:3 offset1:168
	v_add_u32_e32 v0, 0x400, v31
	v_add_u32_e32 v2, 0xf00, v31
	s_waitcnt lgkmcnt(0)
	s_barrier
	ds_read2_b32 v[0:1], v0 offset0:74 offset1:239
	ds_read2_b32 v[2:3], v2 offset0:30 offset1:195
	ds_read2_b32 v[4:5], v31 offset1:165
	v_mul_lo_u16_e32 v7, 3, v40
	v_lshlrev_b32_e32 v29, 2, v7
	s_waitcnt lgkmcnt(1)
	v_pk_add_f16 v7, v1, v2
	v_pk_add_f16 v8, v1, v2 neg_lo:[0,1] neg_hi:[0,1]
	s_waitcnt lgkmcnt(0)
	v_pk_add_f16 v1, v4, v1
	v_pk_fma_f16 v7, v7, 0.5, v4 op_sel_hi:[1,0,1] neg_lo:[1,0,0] neg_hi:[1,0,0]
	v_pk_add_f16 v4, v1, v2
	ds_read2_b32 v[1:2], v6 offset0:20 offset1:185
	ds_read_b32 v6, v31 offset:5280
	v_pk_mul_f16 v8, v8, s1 op_sel_hi:[1,0]
	v_pk_add_f16 v9, v7, v8 op_sel:[0,1] op_sel_hi:[1,0]
	v_pk_add_f16 v7, v7, v8 op_sel:[0,1] op_sel_hi:[1,0] neg_lo:[0,1] neg_hi:[0,1]
	v_bfi_b32 v8, s2, v9, v7
	s_waitcnt lgkmcnt(0)
	s_barrier
	ds_write2_b32 v29, v4, v8 offset1:1
	v_pk_add_f16 v4, v1, v3
	v_pk_fma_f16 v4, v4, 0.5, v5 op_sel_hi:[1,0,1] neg_lo:[1,0,0] neg_hi:[1,0,0]
	v_pk_add_f16 v5, v5, v1
	v_pk_add_f16 v1, v1, v3 neg_lo:[0,1] neg_hi:[0,1]
	v_pk_mul_f16 v1, v1, s1 op_sel_hi:[1,0]
	v_pk_add_f16 v5, v5, v3
	v_pk_add_f16 v8, v4, v1 op_sel:[0,1] op_sel_hi:[1,0] neg_lo:[0,1] neg_hi:[0,1]
	v_pk_add_f16 v1, v4, v1 op_sel:[0,1] op_sel_hi:[1,0]
	v_mul_u32_u24_e32 v3, 3, v48
	v_bfi_b32 v7, s2, v7, v9
	v_lshlrev_b32_e32 v30, 2, v3
	v_bfi_b32 v3, s2, v1, v8
	ds_write_b32 v29, v7 offset:8
	ds_write2_b32 v30, v5, v3 offset1:1
	v_pk_add_f16 v3, v2, v6
	v_pk_fma_f16 v3, v3, 0.5, v0 op_sel_hi:[1,0,1] neg_lo:[1,0,0] neg_hi:[1,0,0]
	v_pk_add_f16 v0, v0, v2
	v_pk_add_f16 v2, v2, v6 neg_lo:[0,1] neg_hi:[0,1]
	v_pk_mul_f16 v2, v2, s1 op_sel_hi:[1,0]
	v_pk_add_f16 v11, v3, v2 op_sel:[0,1] op_sel_hi:[1,0]
	v_pk_add_f16 v12, v3, v2 op_sel:[0,1] op_sel_hi:[1,0] neg_lo:[0,1] neg_hi:[0,1]
	v_mul_u32_u24_e32 v2, 3, v49
	v_bfi_b32 v4, s2, v8, v1
	v_lshlrev_b32_e32 v46, 2, v2
	v_bfi_b32 v2, s2, v12, v11
	v_bfi_b32 v3, s2, v11, v12
	v_pk_add_f16 v13, v0, v6
	ds_write_b32 v30, v4 offset:8
	ds_write2_b32 v46, v3, v2 offset0:1 offset1:2
	ds_write_b32 v46, v13
	s_waitcnt lgkmcnt(0)
	s_barrier
	ds_read_b32 v10, v31
	ds_read_b32 v18, v31 offset:1188
	ds_read_b32 v17, v31 offset:2376
	;; [unrolled: 1-line block ×4, first 2 shown]
	v_lshrrev_b32_e32 v9, 16, v1
	v_lshrrev_b32_e32 v19, 16, v11
	;; [unrolled: 1-line block ×3, first 2 shown]
	s_and_saveexec_b64 s[0:1], vcc
	s_cbranch_execz .LBB0_3
; %bb.2:
	ds_read_b32 v8, v31 offset:660
	ds_read_b32 v11, v31 offset:3036
	;; [unrolled: 1-line block ×5, first 2 shown]
	s_waitcnt lgkmcnt(4)
	v_lshrrev_b32_e32 v9, 16, v8
	s_waitcnt lgkmcnt(3)
	v_lshrrev_b32_e32 v21, 16, v11
	;; [unrolled: 2-line block ×4, first 2 shown]
.LBB0_3:
	s_or_b64 exec, exec, s[0:1]
	s_movk_i32 s0, 0xab
	v_mul_lo_u16_sdwa v0, v40, s0 dst_sel:DWORD dst_unused:UNUSED_PAD src0_sel:BYTE_0 src1_sel:DWORD
	s_mov_b32 s0, 0xaaab
	v_lshrrev_b16_e32 v27, 9, v0
	v_mul_u32_u24_sdwa v4, v48, s0 dst_sel:DWORD dst_unused:UNUSED_PAD src0_sel:WORD_0 src1_sel:DWORD
	v_mul_lo_u16_e32 v0, 3, v27
	v_lshrrev_b32_e32 v44, 17, v4
	v_sub_u16_e32 v0, v40, v0
	v_mul_lo_u16_e32 v4, 3, v44
	v_and_b32_e32 v28, 0xff, v0
	v_sub_u16_e32 v45, v48, v4
	v_lshlrev_b32_e32 v0, 4, v28
	v_lshlrev_b16_e32 v4, 2, v45
	global_load_dwordx4 v[0:3], v0, s[14:15]
	v_lshlrev_b32_e32 v4, 2, v4
	global_load_dwordx4 v[4:7], v4, s[14:15]
	s_waitcnt lgkmcnt(3)
	v_lshrrev_b32_e32 v23, 16, v18
	s_waitcnt lgkmcnt(2)
	v_lshrrev_b32_e32 v24, 16, v17
	;; [unrolled: 2-line block ×4, first 2 shown]
	v_lshrrev_b32_e32 v42, 16, v13
	s_movk_i32 s2, 0x3b9c
	s_mov_b32 s3, 0xbb9c
	s_movk_i32 s1, 0x38b4
	s_mov_b32 s6, 0xb8b4
	s_movk_i32 s0, 0x34f2
	s_waitcnt vmcnt(0)
	s_barrier
	v_mul_f16_sdwa v43, v23, v0 dst_sel:DWORD dst_unused:UNUSED_PAD src0_sel:DWORD src1_sel:WORD_1
	v_mul_f16_sdwa v50, v24, v1 dst_sel:DWORD dst_unused:UNUSED_PAD src0_sel:DWORD src1_sel:WORD_1
	;; [unrolled: 1-line block ×15, first 2 shown]
	v_fma_f16 v18, v18, v0, -v43
	v_fma_f16 v17, v17, v1, -v50
	;; [unrolled: 1-line block ×4, first 2 shown]
	v_mul_f16_sdwa v63, v20, v7 dst_sel:DWORD dst_unused:UNUSED_PAD src0_sel:DWORD src1_sel:WORD_1
	v_fma_f16 v64, v24, v1, v51
	v_fma_f16 v52, v25, v2, v53
	;; [unrolled: 1-line block ×3, first 2 shown]
	v_fma_f16 v13, v13, v4, -v56
	v_fma_f16 v42, v42, v4, v57
	v_fma_f16 v11, v11, v5, -v58
	v_fma_f16 v57, v21, v5, v59
	;; [unrolled: 2-line block ×3, first 2 shown]
	v_fma_f16 v55, v20, v7, -v62
	v_sub_f16_e32 v19, v17, v18
	v_sub_f16_e32 v20, v15, v14
	v_add_f16_e32 v21, v18, v14
	v_fma_f16 v43, v23, v0, v47
	v_fma_f16 v59, v22, v7, v63
	v_sub_f16_e32 v54, v64, v52
	v_sub_f16_e32 v22, v13, v11
	;; [unrolled: 1-line block ×3, first 2 shown]
	v_add_f16_e32 v26, v11, v12
	v_add_f16_e32 v47, v13, v55
	;; [unrolled: 1-line block ×3, first 2 shown]
	v_fma_f16 v20, v21, -0.5, v10
	v_sub_f16_e32 v56, v43, v53
	v_sub_f16_e32 v24, v11, v13
	;; [unrolled: 1-line block ×5, first 2 shown]
	v_add_f16_e32 v60, v22, v23
	v_fma_f16 v21, v26, -0.5, v8
	v_fma_f16 v22, v47, -0.5, v8
	v_fma_f16 v23, v54, s3, v20
	v_fma_f16 v20, v54, s2, v20
	v_add_f16_e32 v25, v24, v25
	v_fma_f16 v24, v50, s2, v21
	v_fma_f16 v21, v50, s3, v21
	;; [unrolled: 1-line block ×12, first 2 shown]
	v_sub_f16_e32 v19, v18, v17
	v_sub_f16_e32 v20, v14, v15
	v_fma_f16 v23, v60, s0, v24
	v_fma_f16 v24, v25, s0, v26
	;; [unrolled: 1-line block ×3, first 2 shown]
	v_add_f16_e32 v60, v19, v20
	v_add_f16_e32 v19, v10, v18
	v_add_f16_e32 v19, v19, v17
	v_add_f16_e32 v19, v19, v15
	v_add_f16_e32 v20, v17, v15
	v_add_f16_e32 v19, v19, v14
	v_sub_f16_e32 v14, v18, v14
	v_sub_f16_e32 v15, v17, v15
	;; [unrolled: 1-line block ×4, first 2 shown]
	v_fma_f16 v61, v20, -0.5, v10
	v_add_f16_e32 v17, v17, v18
	v_mul_u32_u24_e32 v18, 15, v27
	v_lshrrev_b32_e32 v10, 16, v10
	v_add_lshl_u32 v47, v18, v28, 2
	v_add_f16_e32 v18, v10, v43
	v_add_f16_e32 v18, v18, v64
	;; [unrolled: 1-line block ×3, first 2 shown]
	v_fma_f16 v25, v25, s0, v50
	v_add_f16_e32 v50, v18, v53
	v_add_f16_e32 v18, v64, v52
	v_fma_f16 v18, v18, -0.5, v10
	v_fma_f16 v20, v56, s2, v61
	v_fma_f16 v27, v14, s3, v18
	;; [unrolled: 1-line block ×6, first 2 shown]
	v_pack_b32_f16 v27, v19, v50
	v_pack_b32_f16 v28, v20, v51
	ds_write2_b32 v47, v27, v28 offset1:3
	v_add_f16_e32 v27, v43, v53
	v_fma_f16 v10, v27, -0.5, v10
	v_sub_f16_e32 v27, v64, v43
	v_sub_f16_e32 v28, v52, v53
	v_add_f16_e32 v27, v27, v28
	v_fma_f16 v28, v15, s2, v10
	v_fma_f16 v10, v15, s3, v10
	;; [unrolled: 1-line block ×6, first 2 shown]
	v_pack_b32_f16 v10, v21, v52
	v_pack_b32_f16 v27, v22, v53
	ds_write2_b32 v47, v10, v27 offset0:6 offset1:9
	v_fma_f16 v10, v56, s3, v61
	v_add_f16_e32 v8, v8, v13
	v_fma_f16 v10, v54, s6, v10
	v_add_f16_e32 v8, v8, v11
	;; [unrolled: 2-line block ×3, first 2 shown]
	v_sub_f16_e32 v10, v11, v12
	v_sub_f16_e32 v11, v42, v57
	;; [unrolled: 1-line block ×3, first 2 shown]
	v_add_f16_e32 v11, v11, v12
	v_add_f16_e32 v12, v57, v58
	;; [unrolled: 1-line block ×3, first 2 shown]
	v_sub_f16_e32 v8, v13, v55
	v_fma_f16 v12, v12, -0.5, v9
	v_fma_f16 v13, v8, s3, v12
	v_fma_f16 v12, v8, s2, v12
	v_fma_f16 v13, v10, s6, v13
	v_fma_f16 v12, v10, s1, v12
	v_fma_f16 v55, v11, s0, v13
	v_fma_f16 v56, v11, s0, v12
	v_add_f16_e32 v11, v42, v59
	v_fma_f16 v11, v11, -0.5, v9
	v_add_f16_e32 v9, v9, v42
	v_add_f16_e32 v9, v9, v57
	;; [unrolled: 1-line block ×3, first 2 shown]
	v_fma_f16 v14, v14, s2, v18
	v_sub_f16_e32 v12, v57, v42
	v_add_f16_e32 v57, v9, v59
	v_sub_f16_e32 v9, v58, v59
	v_fma_f16 v14, v15, s1, v14
	v_add_f16_e32 v9, v12, v9
	v_fma_f16 v12, v10, s2, v11
	v_fma_f16 v10, v10, s3, v11
	;; [unrolled: 1-line block ×7, first 2 shown]
	v_pack_b32_f16 v8, v27, v54
	ds_write_b32 v47, v8 offset:48
	s_and_saveexec_b64 s[0:1], vcc
	s_cbranch_execz .LBB0_5
; %bb.4:
	v_mad_legacy_u16 v8, v44, 15, v45
	s_mov_b32 s2, 0x5040100
	v_lshlrev_b32_e32 v8, 2, v8
	v_perm_b32 v9, v57, v28, s2
	v_perm_b32 v10, v55, v23, s2
	ds_write2_b32 v8, v9, v10 offset1:3
	v_perm_b32 v9, v58, v24, s2
	v_perm_b32 v10, v59, v25, s2
	ds_write2_b32 v8, v9, v10 offset0:6 offset1:9
	v_perm_b32 v9, v56, v26, s2
	ds_write_b32 v8, v9 offset:48
.LBB0_5:
	s_or_b64 exec, exec, s[0:1]
	s_movk_i32 s0, 0x87
	v_cmp_gt_u16_e64 s[0:1], s0, v40
	s_waitcnt lgkmcnt(0)
	s_barrier
	s_waitcnt lgkmcnt(0)
                                        ; implicit-def: $vgpr60
                                        ; implicit-def: $vgpr61
	s_and_saveexec_b64 s[2:3], s[0:1]
	s_cbranch_execz .LBB0_7
; %bb.6:
	v_add_u32_e32 v8, 0x400, v31
	ds_read2_b32 v[21:22], v8 offset0:14 offset1:149
	v_add_u32_e32 v8, 0x800, v31
	ds_read2_b32 v[27:28], v8 offset0:28 offset1:163
	;; [unrolled: 2-line block ×3, first 2 shown]
	v_add_u32_e32 v8, 0x1000, v31
	ds_read2_b32 v[19:20], v31 offset1:135
	ds_read2_b32 v[25:26], v8 offset0:56 offset1:191
	ds_read_b32 v60, v31 offset:5400
	s_waitcnt lgkmcnt(5)
	v_lshrrev_b32_e32 v52, 16, v21
	v_lshrrev_b32_e32 v53, 16, v22
	s_waitcnt lgkmcnt(2)
	v_lshrrev_b32_e32 v50, 16, v19
	v_lshrrev_b32_e32 v51, 16, v20
	;; [unrolled: 1-line block ×6, first 2 shown]
	s_waitcnt lgkmcnt(1)
	v_lshrrev_b32_e32 v59, 16, v25
	v_lshrrev_b32_e32 v56, 16, v26
	s_waitcnt lgkmcnt(0)
	v_lshrrev_b32_e32 v61, 16, v60
.LBB0_7:
	s_or_b64 exec, exec, s[2:3]
	s_movk_i32 s2, 0x89
	v_mul_lo_u16_sdwa v8, v40, s2 dst_sel:DWORD dst_unused:UNUSED_PAD src0_sel:BYTE_0 src1_sel:DWORD
	v_lshrrev_b16_e32 v42, 11, v8
	v_mul_lo_u16_e32 v8, 15, v42
	v_sub_u16_e32 v8, v40, v8
	v_and_b32_e32 v43, 0xff, v8
	v_mad_u64_u32 v[62:63], s[2:3], v43, 40, s[14:15]
	s_movk_i32 s6, 0x3abb
	s_movk_i32 s7, 0x36a6
	global_load_dwordx4 v[8:11], v[62:63], off offset:48
	global_load_dwordx4 v[12:15], v[62:63], off offset:64
	global_load_dwordx2 v[17:18], v[62:63], off offset:80
	s_mov_b32 s17, 0xb08e
	s_mov_b32 s16, 0xb93d
	;; [unrolled: 1-line block ×3, first 2 shown]
	s_waitcnt vmcnt(0)
	s_barrier
	v_mul_f16_sdwa v62, v51, v8 dst_sel:DWORD dst_unused:UNUSED_PAD src0_sel:DWORD src1_sel:WORD_1
	v_mul_f16_sdwa v63, v20, v8 dst_sel:DWORD dst_unused:UNUSED_PAD src0_sel:DWORD src1_sel:WORD_1
	;; [unrolled: 1-line block ×11, first 2 shown]
	v_fma_f16 v65, v20, v8, -v62
	v_fma_f16 v60, v60, v18, -v82
	v_mul_f16_sdwa v67, v21, v9 dst_sel:DWORD dst_unused:UNUSED_PAD src0_sel:DWORD src1_sel:WORD_1
	v_mul_f16_sdwa v68, v53, v10 dst_sel:DWORD dst_unused:UNUSED_PAD src0_sel:DWORD src1_sel:WORD_1
	;; [unrolled: 1-line block ×7, first 2 shown]
	v_fma_f16 v62, v51, v8, v63
	v_fma_f16 v66, v21, v9, -v64
	v_fma_f16 v64, v53, v10, v69
	v_fma_f16 v69, v28, v12, -v72
	v_fma_f16 v28, v57, v12, v73
	v_fma_f16 v57, v58, v14, v77
	;; [unrolled: 1-line block ×3, first 2 shown]
	v_fma_f16 v73, v26, v17, -v80
	v_fma_f16 v59, v61, v18, v83
	v_sub_f16_e32 v91, v65, v60
	v_mul_f16_sdwa v71, v27, v11 dst_sel:DWORD dst_unused:UNUSED_PAD src0_sel:DWORD src1_sel:WORD_1
	v_mul_f16_sdwa v75, v23, v13 dst_sel:DWORD dst_unused:UNUSED_PAD src0_sel:DWORD src1_sel:WORD_1
	v_fma_f16 v63, v52, v9, v67
	v_fma_f16 v67, v22, v10, -v68
	v_fma_f16 v68, v27, v11, -v70
	;; [unrolled: 1-line block ×4, first 2 shown]
	v_fma_f16 v56, v56, v17, v81
	v_add_f16_e32 v23, v62, v59
	v_sub_f16_e32 v87, v62, v59
	v_sub_f16_e32 v92, v66, v73
	v_mul_f16_e32 v79, 0xb853, v91
	v_fma_f16 v27, v54, v11, v71
	v_fma_f16 v71, v24, v14, -v76
	v_add_f16_e32 v20, v65, v60
	v_add_f16_e32 v24, v63, v56
	v_sub_f16_e32 v89, v63, v56
	v_sub_f16_e32 v94, v67, v72
	v_mul_f16_e32 v76, 0xb853, v87
	v_mul_f16_e32 v80, 0xbb47, v92
	v_fma_f16 v51, v23, s6, -v79
	v_add_f16_e32 v21, v66, v73
	v_sub_f16_e32 v88, v64, v58
	v_add_f16_e32 v25, v64, v58
	v_mul_f16_e32 v82, 0xbb47, v87
	v_mul_f16_e32 v77, 0xbb47, v89
	;; [unrolled: 1-line block ×3, first 2 shown]
	v_fma_f16 v26, v20, s6, v76
	v_fma_f16 v61, v24, s7, -v80
	v_add_f16_e32 v51, v50, v51
	v_add_f16_e32 v22, v67, v72
	v_mul_f16_e32 v84, 0xbb47, v91
	v_mul_f16_e32 v83, 0xba0c, v89
	;; [unrolled: 1-line block ×3, first 2 shown]
	v_fma_f16 v52, v20, s7, v82
	v_fma_f16 v54, v21, s7, v77
	v_fma_f16 v90, v25, s17, -v81
	v_add_f16_e32 v26, v19, v26
	v_add_f16_e32 v51, v61, v51
	v_mul_f16_e32 v85, 0xba0c, v92
	v_fma_f16 v53, v23, s7, -v84
	v_fma_f16 v74, v21, s16, v83
	v_fma_f16 v86, v22, s17, v78
	v_add_f16_e32 v52, v19, v52
	v_add_f16_e32 v26, v54, v26
	v_add_f16_e32 v51, v90, v51
	v_mul_f16_e32 v90, 0x3482, v88
	v_fma_f16 v55, v55, v13, v75
	v_fma_f16 v75, v24, s16, -v85
	v_add_f16_e32 v53, v50, v53
	v_add_f16_e32 v52, v74, v52
	;; [unrolled: 1-line block ×3, first 2 shown]
	v_fma_f16 v26, v22, s18, v90
	v_mul_f16_e32 v96, 0x3482, v94
	v_add_f16_e32 v53, v75, v53
	v_add_f16_e32 v52, v26, v52
	v_fma_f16 v26, v25, s18, -v96
	v_sub_f16_e32 v99, v27, v57
	v_add_f16_e32 v53, v26, v53
	v_add_f16_e32 v26, v68, v71
	v_mul_f16_e32 v86, 0xba0c, v99
	v_fma_f16 v61, v26, s16, v86
	v_sub_f16_e32 v104, v68, v71
	v_add_f16_e32 v54, v61, v54
	v_add_f16_e32 v61, v27, v57
	v_mul_f16_e32 v93, 0xba0c, v104
	v_fma_f16 v74, v61, s16, -v93
	v_mul_f16_e32 v97, 0x3beb, v99
	v_sub_f16_e32 v105, v69, v70
	v_add_f16_e32 v101, v74, v51
	v_fma_f16 v51, v26, s17, v97
	v_add_f16_e32 v75, v28, v55
	v_mul_f16_e32 v98, 0xb482, v105
	v_add_f16_e32 v103, v51, v52
	v_mul_f16_e32 v100, 0x3beb, v104
	v_sub_f16_e32 v102, v28, v55
	v_fma_f16 v52, v75, s18, -v98
	v_fma_f16 v51, v61, s17, -v100
	v_add_f16_e32 v74, v69, v70
	v_add_f16_e32 v52, v52, v101
	v_mul_f16_e32 v101, 0x3853, v102
	v_add_f16_e32 v106, v51, v53
	v_mul_f16_e32 v95, 0xb482, v102
	v_fma_f16 v53, v74, s6, v101
	v_fma_f16 v51, v74, s18, v95
	v_add_f16_e32 v53, v53, v103
	v_mul_f16_e32 v103, 0x3853, v105
	v_add_f16_e32 v51, v51, v54
	v_fma_f16 v54, v75, s6, -v103
	v_add_f16_e32 v54, v54, v106
	s_and_saveexec_b64 s[2:3], s[0:1]
	s_cbranch_execz .LBB0_9
; %bb.8:
	v_mul_f16_e32 v126, 0xb482, v91
	v_fma_f16 v127, v23, s18, v126
	v_mul_f16_e32 v128, 0x3853, v92
	v_add_f16_e32 v127, v50, v127
	v_fma_f16 v129, v24, s6, v128
	v_add_f16_e32 v127, v129, v127
	v_mul_f16_e32 v129, 0xba0c, v94
	v_fma_f16 v130, v25, s16, v129
	v_add_f16_e32 v127, v130, v127
	v_mul_f16_e32 v130, 0x3b47, v104
	;; [unrolled: 3-line block ×4, first 2 shown]
	v_fma_f16 v133, v20, s18, -v132
	v_mul_f16_e32 v134, 0x3853, v89
	v_add_f16_e32 v133, v19, v133
	v_fma_f16 v135, v21, s6, -v134
	v_add_f16_e32 v133, v135, v133
	v_mul_f16_e32 v135, 0xba0c, v88
	v_fma_f16 v136, v22, s16, -v135
	v_add_f16_e32 v133, v136, v133
	v_mul_f16_e32 v136, 0x3b47, v99
	;; [unrolled: 3-line block ×4, first 2 shown]
	v_fma_f16 v139, v23, s16, v138
	v_mul_f16_e32 v140, 0x3beb, v92
	v_add_f16_e32 v139, v50, v139
	v_fma_f16 v141, v24, s17, v140
	v_add_f16_e32 v139, v141, v139
	v_mul_f16_e32 v141, 0xb853, v94
	v_fma_f16 v142, v25, s6, v141
	v_add_f16_e32 v62, v50, v62
	v_add_f16_e32 v139, v142, v139
	v_mul_f16_e32 v142, 0xb482, v104
	v_add_f16_e32 v62, v62, v63
	v_fma_f16 v143, v61, s18, v142
	v_add_f16_e32 v62, v62, v64
	v_add_f16_e32 v139, v143, v139
	v_mul_f16_e32 v143, 0x3b47, v105
	v_add_f16_e32 v27, v62, v27
	v_fma_f16 v144, v75, s7, v143
	v_add_f16_e32 v27, v27, v28
	v_fma_f16 v28, v23, s18, -v126
	v_add_f16_e32 v139, v144, v139
	v_mul_f16_e32 v144, 0xba0c, v87
	v_add_f16_e32 v27, v27, v55
	v_add_f16_e32 v28, v50, v28
	v_fma_f16 v55, v24, s6, -v128
	v_fma_f16 v145, v20, s16, -v144
	v_mul_f16_e32 v146, 0x3beb, v89
	v_add_f16_e32 v28, v55, v28
	v_fma_f16 v55, v25, s16, -v129
	v_add_f16_e32 v145, v19, v145
	v_fma_f16 v147, v21, s17, -v146
	;; [unrolled: 2-line block ×3, first 2 shown]
	v_add_f16_e32 v145, v147, v145
	v_mul_f16_e32 v147, 0xb853, v88
	v_add_f16_e32 v27, v27, v57
	v_add_f16_e32 v28, v55, v28
	v_fma_f16 v55, v75, s17, -v131
	v_fma_f16 v148, v22, s6, -v147
	v_add_f16_e32 v27, v27, v58
	v_add_f16_e32 v28, v55, v28
	v_fma_f16 v55, v20, s18, v132
	v_add_f16_e32 v145, v148, v145
	v_mul_f16_e32 v148, 0xb482, v99
	v_add_f16_e32 v27, v27, v56
	v_add_f16_e32 v55, v19, v55
	v_fma_f16 v56, v21, s6, v134
	v_fma_f16 v149, v26, s18, -v148
	v_add_f16_e32 v55, v56, v55
	v_fma_f16 v56, v22, s16, v135
	v_add_f16_e32 v145, v149, v145
	v_mul_f16_e32 v149, 0x3b47, v102
	v_add_f16_e32 v55, v56, v55
	v_fma_f16 v56, v26, s7, v136
	v_fma_f16 v150, v74, s7, -v149
	v_mul_f16_e32 v91, 0xbbeb, v91
	v_add_f16_e32 v55, v56, v55
	v_fma_f16 v56, v74, s17, v137
	v_add_f16_e32 v145, v150, v145
	v_fma_f16 v150, v23, s17, v91
	v_mul_f16_e32 v92, 0x3482, v92
	v_add_f16_e32 v55, v56, v55
	v_fma_f16 v56, v23, s16, -v138
	v_add_f16_e32 v150, v50, v150
	v_fma_f16 v151, v24, s18, v92
	v_mul_f16_e32 v94, 0x3b47, v94
	v_add_f16_e32 v65, v19, v65
	v_add_f16_e32 v56, v50, v56
	v_fma_f16 v57, v24, s17, -v140
	v_add_f16_e32 v150, v151, v150
	v_fma_f16 v151, v25, s7, v94
	v_mul_f16_e32 v104, 0xb853, v104
	v_add_f16_e32 v65, v65, v66
	v_add_f16_e32 v56, v57, v56
	v_fma_f16 v57, v25, s6, -v141
	v_add_f16_e32 v150, v151, v150
	v_fma_f16 v151, v61, s6, v104
	v_mul_f16_e32 v105, 0xba0c, v105
	v_add_f16_e32 v65, v65, v67
	v_add_f16_e32 v56, v57, v56
	v_fma_f16 v57, v61, s18, -v142
	v_mul_f16_e32 v106, 0x3abb, v20
	v_mul_f16_e32 v107, 0x3abb, v23
	;; [unrolled: 1-line block ×3, first 2 shown]
	v_add_f16_e32 v150, v151, v150
	v_fma_f16 v151, v75, s16, v105
	v_mul_f16_e32 v87, 0xbbeb, v87
	v_add_f16_e32 v65, v65, v68
	v_add_f16_e32 v56, v57, v56
	v_fma_f16 v57, v75, s7, -v143
	v_mul_f16_e32 v109, 0x36a6, v23
	v_mul_f16_e32 v110, 0x36a6, v21
	;; [unrolled: 1-line block ×3, first 2 shown]
	v_add_f16_e32 v150, v151, v150
	v_fma_f16 v151, v20, s17, -v87
	v_mul_f16_e32 v89, 0x3482, v89
	v_sub_f16_e32 v82, v108, v82
	v_add_f16_e32 v79, v79, v107
	v_sub_f16_e32 v76, v106, v76
	v_add_f16_e32 v65, v65, v69
	v_add_f16_e32 v56, v57, v56
	v_fma_f16 v57, v20, s16, v144
	v_fma_f16 v20, v20, s17, v87
	v_mul_f16_e32 v112, 0xb93d, v21
	v_mul_f16_e32 v113, 0xb93d, v24
	;; [unrolled: 1-line block ×4, first 2 shown]
	v_add_f16_e32 v151, v19, v151
	v_mul_f16_e32 v88, 0x3b47, v88
	v_add_f16_e32 v84, v84, v109
	v_add_f16_e32 v82, v19, v82
	;; [unrolled: 1-line block ×5, first 2 shown]
	v_sub_f16_e32 v77, v110, v77
	v_add_f16_e32 v65, v65, v70
	v_add_f16_e32 v57, v19, v57
	;; [unrolled: 1-line block ×3, first 2 shown]
	v_fma_f16 v20, v21, s18, v89
	v_mul_f16_e32 v116, 0xbbad, v22
	v_mul_f16_e32 v117, 0xbbad, v25
	v_mul_f16_e32 v118, 0xb93d, v26
	v_mul_f16_e32 v119, 0xb93d, v61
	v_fma_f16 v152, v21, s18, -v89
	v_mul_f16_e32 v99, 0xb853, v99
	v_add_f16_e32 v84, v50, v84
	v_add_f16_e32 v85, v85, v113
	v_sub_f16_e32 v83, v112, v83
	v_add_f16_e32 v79, v80, v79
	v_add_f16_e32 v80, v81, v115
	;; [unrolled: 1-line block ×3, first 2 shown]
	v_sub_f16_e32 v77, v114, v78
	v_add_f16_e32 v65, v65, v71
	v_add_f16_e32 v19, v20, v19
	v_fma_f16 v20, v22, s7, v88
	v_mul_f16_e32 v120, 0xb08e, v26
	v_mul_f16_e32 v121, 0xb08e, v61
	;; [unrolled: 1-line block ×4, first 2 shown]
	v_add_f16_e32 v151, v152, v151
	v_fma_f16 v152, v22, s7, -v88
	v_mul_f16_e32 v102, 0xba0c, v102
	v_add_f16_e32 v84, v85, v84
	v_add_f16_e32 v85, v96, v117
	;; [unrolled: 1-line block ×3, first 2 shown]
	v_sub_f16_e32 v83, v116, v90
	v_add_f16_e32 v79, v80, v79
	v_add_f16_e32 v80, v93, v119
	;; [unrolled: 1-line block ×3, first 2 shown]
	v_sub_f16_e32 v77, v118, v86
	v_add_f16_e32 v65, v65, v72
	v_add_f16_e32 v19, v20, v19
	v_fma_f16 v20, v26, s6, v99
	v_mul_f16_e32 v124, 0x3abb, v74
	v_mul_f16_e32 v125, 0x3abb, v75
	v_add_f16_e32 v151, v152, v151
	v_fma_f16 v152, v26, s6, -v99
	v_add_f16_e32 v84, v85, v84
	v_add_f16_e32 v85, v100, v121
	v_add_f16_e32 v82, v83, v82
	v_sub_f16_e32 v83, v120, v97
	v_add_f16_e32 v79, v80, v79
	v_add_f16_e32 v80, v98, v123
	;; [unrolled: 1-line block ×3, first 2 shown]
	v_sub_f16_e32 v77, v122, v95
	v_add_f16_e32 v65, v65, v73
	v_fma_f16 v58, v21, s17, v146
	v_fma_f16 v23, v23, s17, -v91
	v_add_f16_e32 v19, v20, v19
	v_fma_f16 v20, v74, s16, v102
	v_add_f16_e32 v151, v152, v151
	v_fma_f16 v152, v74, s16, -v102
	v_add_f16_e32 v84, v85, v84
	v_add_f16_e32 v85, v103, v125
	;; [unrolled: 1-line block ×3, first 2 shown]
	v_sub_f16_e32 v83, v124, v101
	v_add_f16_e32 v79, v80, v79
	v_add_f16_e32 v76, v77, v76
	;; [unrolled: 1-line block ×5, first 2 shown]
	v_fma_f16 v58, v22, s6, v147
	v_add_f16_e32 v23, v50, v23
	v_fma_f16 v24, v24, s18, -v92
	v_add_f16_e32 v19, v20, v19
	v_mul_u32_u24_e32 v20, 0xa5, v42
	v_add_f16_e32 v151, v152, v151
	v_add_f16_e32 v84, v85, v84
	v_add_f16_e32 v82, v83, v82
	v_add_f16_e32 v57, v58, v57
	v_fma_f16 v58, v26, s18, v148
	v_add_f16_e32 v23, v24, v23
	v_fma_f16 v24, v25, s7, -v94
	v_add_lshl_u32 v20, v20, v43, 2
	v_pack_b32_f16 v21, v60, v27
	v_pack_b32_f16 v22, v76, v79
	v_add_f16_e32 v57, v58, v57
	v_fma_f16 v58, v74, s7, v149
	v_add_f16_e32 v23, v24, v23
	v_fma_f16 v24, v61, s6, -v104
	ds_write2_b32 v20, v21, v22 offset1:15
	v_pack_b32_f16 v21, v82, v84
	v_pack_b32_f16 v22, v151, v150
	v_add_f16_e32 v57, v58, v57
	v_add_f16_e32 v23, v24, v23
	v_fma_f16 v24, v75, s16, -v105
	ds_write2_b32 v20, v21, v22 offset0:30 offset1:45
	v_pack_b32_f16 v21, v145, v139
	v_pack_b32_f16 v22, v133, v127
	v_add_f16_e32 v23, v24, v23
	ds_write2_b32 v20, v21, v22 offset0:60 offset1:75
	v_pack_b32_f16 v21, v55, v28
	v_pack_b32_f16 v22, v57, v56
	s_mov_b32 s6, 0x5040100
	ds_write2_b32 v20, v21, v22 offset0:90 offset1:105
	v_pack_b32_f16 v19, v19, v23
	v_perm_b32 v21, v54, v53, s6
	ds_write2_b32 v20, v19, v21 offset0:120 offset1:135
	v_perm_b32 v19, v52, v51, s6
	ds_write_b32 v20, v19 offset:600
.LBB0_9:
	s_or_b64 exec, exec, s[2:3]
	s_mov_b32 s2, 0x8d31
	v_mul_u32_u24_sdwa v21, v49, s2 dst_sel:DWORD dst_unused:UNUSED_PAD src0_sel:WORD_0 src1_sel:DWORD
	v_sub_u16_sdwa v23, v49, v21 dst_sel:DWORD dst_unused:UNUSED_PAD src0_sel:DWORD src1_sel:WORD_1
	v_lshrrev_b16_e32 v23, 1, v23
	v_add_u16_sdwa v21, v23, v21 dst_sel:DWORD dst_unused:UNUSED_PAD src0_sel:DWORD src1_sel:WORD_1
	v_lshrrev_b16_e32 v21, 7, v21
	v_lshlrev_b32_e32 v57, 3, v40
	v_mul_lo_u16_e32 v21, 0xa5, v21
	s_waitcnt lgkmcnt(0)
	s_barrier
	global_load_dwordx2 v[19:20], v57, s[14:15] offset:648
	v_sub_u16_e32 v50, v49, v21
	v_lshlrev_b16_e32 v21, 3, v50
	v_mov_b32_e32 v22, s15
	v_add_co_u32_e64 v21, s[2:3], s14, v21
	v_addc_co_u32_e64 v22, s[2:3], 0, v22, s[2:3]
	global_load_dwordx2 v[21:22], v[21:22], off offset:648
	v_add_u32_e32 v61, 0x400, v31
	ds_read2_b32 v[23:24], v31 offset1:165
	v_add_u32_e32 v62, 0xf00, v31
	v_add_u32_e32 v63, 0xa00, v31
	ds_read_b32 v58, v31 offset:5280
	ds_read2_b32 v[25:26], v61 offset0:74 offset1:239
	ds_read2_b32 v[27:28], v62 offset0:30 offset1:195
	;; [unrolled: 1-line block ×3, first 2 shown]
	s_waitcnt lgkmcnt(4)
	v_lshrrev_b32_e32 v60, 16, v24
	s_movk_i32 s6, 0x3aee
	s_waitcnt lgkmcnt(2)
	v_lshrrev_b32_e32 v65, 16, v26
	s_waitcnt lgkmcnt(1)
	v_lshrrev_b32_e32 v66, 16, v27
	;; [unrolled: 2-line block ×3, first 2 shown]
	v_lshrrev_b32_e32 v68, 16, v28
	s_mov_b32 s7, 0xbaee
	v_lshrrev_b32_e32 v59, 16, v23
	v_lshrrev_b32_e32 v64, 16, v58
	;; [unrolled: 1-line block ×4, first 2 shown]
	s_waitcnt vmcnt(0)
	s_barrier
	v_lshlrev_b32_e32 v50, 2, v50
	v_mul_f16_sdwa v71, v65, v19 dst_sel:DWORD dst_unused:UNUSED_PAD src0_sel:DWORD src1_sel:WORD_1
	v_mul_f16_sdwa v73, v66, v20 dst_sel:DWORD dst_unused:UNUSED_PAD src0_sel:DWORD src1_sel:WORD_1
	;; [unrolled: 1-line block ×8, first 2 shown]
	v_fma_f16 v26, v26, v19, -v71
	v_fma_f16 v27, v27, v20, -v73
	v_fma_f16 v67, v67, v19, v76
	v_fma_f16 v68, v68, v20, v78
	;; [unrolled: 1-line block ×4, first 2 shown]
	v_fma_f16 v55, v55, v19, -v75
	v_fma_f16 v28, v28, v20, -v77
	v_add_f16_e32 v72, v26, v27
	v_sub_f16_e32 v77, v67, v68
	v_add_f16_e32 v78, v60, v67
	v_add_f16_e32 v67, v67, v68
	;; [unrolled: 1-line block ×3, first 2 shown]
	v_sub_f16_e32 v73, v65, v66
	v_add_f16_e32 v75, v24, v55
	v_add_f16_e32 v76, v55, v28
	v_sub_f16_e32 v55, v55, v28
	v_fma_f16 v23, v72, -0.5, v23
	v_fma_f16 v60, v67, -0.5, v60
	v_add_f16_e32 v74, v59, v65
	v_sub_f16_e32 v26, v26, v27
	v_add_f16_e32 v27, v71, v27
	v_fma_f16 v67, v73, s6, v23
	v_fma_f16 v23, v73, s7, v23
	v_fma_f16 v71, v55, s7, v60
	v_fma_f16 v55, v55, s6, v60
	v_mul_f16_sdwa v60, v70, v21 dst_sel:DWORD dst_unused:UNUSED_PAD src0_sel:DWORD src1_sel:WORD_1
	v_mul_f16_sdwa v73, v64, v22 dst_sel:DWORD dst_unused:UNUSED_PAD src0_sel:DWORD src1_sel:WORD_1
	v_add_f16_e32 v65, v65, v66
	v_add_f16_e32 v66, v74, v66
	v_mul_f16_sdwa v72, v56, v21 dst_sel:DWORD dst_unused:UNUSED_PAD src0_sel:DWORD src1_sel:WORD_1
	v_mul_f16_sdwa v74, v58, v22 dst_sel:DWORD dst_unused:UNUSED_PAD src0_sel:DWORD src1_sel:WORD_1
	v_fma_f16 v56, v56, v21, -v60
	v_fma_f16 v58, v58, v22, -v73
	v_fma_f16 v60, v70, v21, v72
	v_fma_f16 v64, v64, v22, v74
	v_add_f16_e32 v72, v56, v58
	v_add_f16_e32 v70, v25, v56
	v_fma_f16 v25, v72, -0.5, v25
	v_sub_f16_e32 v72, v60, v64
	v_fma_f16 v59, v65, -0.5, v59
	v_fma_f16 v73, v72, s6, v25
	v_fma_f16 v25, v72, s7, v25
	v_add_f16_e32 v72, v69, v60
	v_add_f16_e32 v60, v60, v64
	;; [unrolled: 1-line block ×3, first 2 shown]
	v_fma_f16 v24, v76, -0.5, v24
	v_add_f16_e32 v65, v78, v68
	v_fma_f16 v68, v26, s7, v59
	v_fma_f16 v26, v26, s6, v59
	v_fma_f16 v60, v60, -0.5, v69
	v_sub_f16_e32 v56, v56, v58
	v_fma_f16 v59, v77, s6, v24
	v_fma_f16 v24, v77, s7, v24
	v_add_f16_e32 v70, v70, v58
	v_fma_f16 v58, v56, s7, v60
	v_fma_f16 v56, v56, s6, v60
	v_pack_b32_f16 v27, v27, v66
	v_pack_b32_f16 v60, v67, v68
	;; [unrolled: 1-line block ×4, first 2 shown]
	v_add_f16_e32 v72, v72, v64
	ds_write2_b32 v31, v27, v60 offset1:165
	ds_write2_b32 v61, v23, v26 offset0:74 offset1:239
	v_pack_b32_f16 v23, v59, v71
	v_pack_b32_f16 v24, v24, v55
	ds_write2_b32 v63, v23, v24 offset0:20 offset1:185
	v_pack_b32_f16 v23, v70, v72
	v_pack_b32_f16 v24, v73, v58
	v_add_u32_e32 v26, 0xf00, v50
	ds_write2_b32 v26, v23, v24 offset0:30 offset1:195
	v_pack_b32_f16 v23, v25, v56
	ds_write_b32 v50, v23 offset:5280
	s_waitcnt lgkmcnt(0)
	s_barrier
	global_load_dwordx2 v[23:24], v57, s[14:15] offset:1968
	v_lshlrev_b32_e32 v25, 3, v48
	global_load_dwordx2 v[25:26], v25, s[14:15] offset:1968
	v_lshlrev_b32_e32 v27, 3, v49
	;; [unrolled: 2-line block ×3, first 2 shown]
	v_mov_b32_e32 v49, s13
	v_add_co_u32_e64 v64, s[2:3], s12, v48
	v_addc_co_u32_e64 v65, s[2:3], 0, v49, s[2:3]
	ds_read2_b32 v[48:49], v31 offset1:165
	ds_read2_b32 v[55:56], v61 offset0:74 offset1:239
	ds_read2_b32 v[57:58], v62 offset0:30 offset1:195
	;; [unrolled: 1-line block ×3, first 2 shown]
	ds_read_b32 v66, v31 offset:5280
	s_waitcnt lgkmcnt(4)
	v_lshrrev_b32_e32 v67, 16, v48
	s_waitcnt lgkmcnt(3)
	v_lshrrev_b32_e32 v68, 16, v56
	;; [unrolled: 2-line block ×4, first 2 shown]
	v_lshrrev_b32_e32 v72, 16, v58
	v_lshrrev_b32_e32 v74, 16, v60
	s_waitcnt lgkmcnt(0)
	v_lshrrev_b32_e32 v75, 16, v66
	v_lshrrev_b32_e32 v70, 16, v49
	;; [unrolled: 1-line block ×3, first 2 shown]
	s_movk_i32 s2, 0x1000
	s_waitcnt vmcnt(2)
	v_mul_f16_sdwa v76, v68, v23 dst_sel:DWORD dst_unused:UNUSED_PAD src0_sel:DWORD src1_sel:WORD_1
	v_mul_f16_sdwa v78, v69, v24 dst_sel:DWORD dst_unused:UNUSED_PAD src0_sel:DWORD src1_sel:WORD_1
	;; [unrolled: 1-line block ×4, first 2 shown]
	v_fma_f16 v56, v56, v23, -v76
	v_fma_f16 v57, v57, v24, -v78
	v_fma_f16 v68, v68, v23, v77
	v_fma_f16 v69, v69, v24, v79
	v_add_f16_e32 v77, v56, v57
	s_waitcnt vmcnt(1)
	v_mul_f16_sdwa v80, v71, v25 dst_sel:DWORD dst_unused:UNUSED_PAD src0_sel:DWORD src1_sel:WORD_1
	v_mul_f16_sdwa v82, v72, v26 dst_sel:DWORD dst_unused:UNUSED_PAD src0_sel:DWORD src1_sel:WORD_1
	v_add_f16_e32 v76, v48, v56
	v_fma_f16 v48, v77, -0.5, v48
	v_sub_f16_e32 v77, v68, v69
	v_mul_f16_sdwa v81, v59, v25 dst_sel:DWORD dst_unused:UNUSED_PAD src0_sel:DWORD src1_sel:WORD_1
	v_mul_f16_sdwa v83, v58, v26 dst_sel:DWORD dst_unused:UNUSED_PAD src0_sel:DWORD src1_sel:WORD_1
	v_fma_f16 v59, v59, v25, -v80
	v_fma_f16 v58, v58, v26, -v82
	v_fma_f16 v78, v77, s6, v48
	v_fma_f16 v48, v77, s7, v48
	v_add_f16_e32 v77, v67, v68
	v_add_f16_e32 v68, v68, v69
	v_fma_f16 v71, v71, v25, v81
	v_fma_f16 v72, v72, v26, v83
	v_fma_f16 v67, v68, -0.5, v67
	v_sub_f16_e32 v56, v56, v57
	v_add_f16_e32 v68, v59, v58
	s_waitcnt vmcnt(0)
	v_mul_f16_sdwa v84, v74, v27 dst_sel:DWORD dst_unused:UNUSED_PAD src0_sel:DWORD src1_sel:WORD_1
	v_mul_f16_sdwa v86, v75, v28 dst_sel:DWORD dst_unused:UNUSED_PAD src0_sel:DWORD src1_sel:WORD_1
	v_add_f16_e32 v76, v76, v57
	v_fma_f16 v57, v56, s7, v67
	v_fma_f16 v56, v56, s6, v67
	v_add_f16_e32 v67, v49, v59
	v_fma_f16 v49, v68, -0.5, v49
	v_sub_f16_e32 v68, v71, v72
	v_mul_f16_sdwa v85, v60, v27 dst_sel:DWORD dst_unused:UNUSED_PAD src0_sel:DWORD src1_sel:WORD_1
	v_mul_f16_sdwa v87, v66, v28 dst_sel:DWORD dst_unused:UNUSED_PAD src0_sel:DWORD src1_sel:WORD_1
	v_fma_f16 v60, v60, v27, -v84
	v_fma_f16 v66, v66, v28, -v86
	v_add_f16_e32 v77, v77, v69
	v_fma_f16 v69, v68, s6, v49
	v_fma_f16 v49, v68, s7, v49
	v_add_f16_e32 v68, v70, v71
	v_add_f16_e32 v71, v71, v72
	v_fma_f16 v74, v74, v27, v85
	v_fma_f16 v75, v75, v28, v87
	v_add_f16_e32 v67, v67, v58
	v_fma_f16 v70, v71, -0.5, v70
	v_sub_f16_e32 v58, v59, v58
	v_add_f16_e32 v71, v60, v66
	v_fma_f16 v59, v58, s7, v70
	v_fma_f16 v58, v58, s6, v70
	v_add_f16_e32 v70, v55, v60
	v_fma_f16 v55, v71, -0.5, v55
	v_sub_f16_e32 v71, v74, v75
	v_add_f16_e32 v68, v68, v72
	v_fma_f16 v72, v71, s6, v55
	v_fma_f16 v55, v71, s7, v55
	v_add_f16_e32 v71, v73, v74
	v_add_f16_e32 v74, v74, v75
	;; [unrolled: 1-line block ×4, first 2 shown]
	v_fma_f16 v73, v74, -0.5, v73
	v_sub_f16_e32 v60, v60, v66
	v_pack_b32_f16 v48, v48, v56
	v_fma_f16 v66, v60, s7, v73
	v_fma_f16 v60, v60, s6, v73
	v_pack_b32_f16 v73, v76, v77
	v_pack_b32_f16 v57, v78, v57
	ds_write_b32 v31, v48 offset:3960
	v_pack_b32_f16 v48, v67, v68
	v_pack_b32_f16 v56, v70, v71
	ds_write_b32 v31, v57 offset:1980
	ds_write2_b32 v31, v73, v48 offset1:165
	v_pack_b32_f16 v48, v69, v59
	ds_write_b32 v31, v56 offset:1320
	v_pack_b32_f16 v56, v72, v66
	v_pack_b32_f16 v49, v49, v58
	ds_write2_b32 v63, v48, v56 offset0:20 offset1:185
	v_pack_b32_f16 v48, v55, v60
	v_add_u32_e32 v59, 0x1200, v31
	ds_write2_b32 v59, v49, v48 offset0:3 offset1:168
	v_add_co_u32_e64 v48, s[2:3], s2, v64
	v_addc_co_u32_e64 v49, s[2:3], 0, v65, s[2:3]
	s_waitcnt lgkmcnt(0)
	s_barrier
	global_load_dword v57, v[48:49], off offset:1844
	s_movk_i32 s2, 0x1734
	v_add_co_u32_e64 v48, s[2:3], s2, v64
	v_addc_co_u32_e64 v49, s[2:3], 0, v65, s[2:3]
	global_load_dword v60, v[48:49], off offset:1980
	s_movk_i32 s2, 0x2000
	v_add_co_u32_e64 v55, s[2:3], s2, v64
	v_addc_co_u32_e64 v56, s[2:3], 0, v65, s[2:3]
	global_load_dword v64, v[55:56], off offset:2368
	global_load_dword v65, v[48:49], off offset:3960
	;; [unrolled: 1-line block ×7, first 2 shown]
	ds_read2_b32 v[48:49], v31 offset1:165
	s_mov_b32 s2, 0xffff
	s_waitcnt lgkmcnt(0)
	v_lshrrev_b32_e32 v55, 16, v48
	s_waitcnt vmcnt(8)
	v_mul_f16_sdwa v56, v55, v57 dst_sel:DWORD dst_unused:UNUSED_PAD src0_sel:DWORD src1_sel:WORD_1
	v_fma_f16 v56, v48, v57, -v56
	v_mul_f16_sdwa v48, v48, v57 dst_sel:DWORD dst_unused:UNUSED_PAD src0_sel:DWORD src1_sel:WORD_1
	v_fma_f16 v48, v55, v57, v48
	v_pack_b32_f16 v48, v56, v48
	ds_write_b32 v31, v48
	ds_read2_b32 v[55:56], v61 offset0:74 offset1:239
	ds_read2_b32 v[57:58], v62 offset0:30 offset1:195
	s_waitcnt lgkmcnt(1)
	v_lshrrev_b32_e32 v48, 16, v56
	s_waitcnt vmcnt(7)
	v_mul_f16_sdwa v71, v48, v60 dst_sel:DWORD dst_unused:UNUSED_PAD src0_sel:DWORD src1_sel:WORD_1
	v_fma_f16 v71, v56, v60, -v71
	v_mul_f16_sdwa v56, v56, v60 dst_sel:DWORD dst_unused:UNUSED_PAD src0_sel:DWORD src1_sel:WORD_1
	v_fma_f16 v48, v48, v60, v56
	s_waitcnt lgkmcnt(0)
	v_lshrrev_b32_e32 v56, 16, v57
	s_waitcnt vmcnt(5)
	v_mul_f16_sdwa v60, v56, v65 dst_sel:DWORD dst_unused:UNUSED_PAD src0_sel:DWORD src1_sel:WORD_1
	v_fma_f16 v60, v57, v65, -v60
	v_mul_f16_sdwa v57, v57, v65 dst_sel:DWORD dst_unused:UNUSED_PAD src0_sel:DWORD src1_sel:WORD_1
	v_fma_f16 v56, v56, v65, v57
	v_pack_b32_f16 v60, v60, v56
	ds_read2_b32 v[56:57], v63 offset0:20 offset1:185
	v_lshrrev_b32_e32 v65, 16, v49
	v_pack_b32_f16 v48, v71, v48
	s_waitcnt vmcnt(4)
	v_mul_f16_sdwa v71, v65, v66 dst_sel:DWORD dst_unused:UNUSED_PAD src0_sel:DWORD src1_sel:WORD_1
	v_fma_f16 v71, v49, v66, -v71
	v_mul_f16_sdwa v49, v49, v66 dst_sel:DWORD dst_unused:UNUSED_PAD src0_sel:DWORD src1_sel:WORD_1
	v_fma_f16 v49, v65, v66, v49
	s_waitcnt lgkmcnt(0)
	v_lshrrev_b32_e32 v65, 16, v56
	s_waitcnt vmcnt(3)
	v_mul_f16_sdwa v66, v65, v67 dst_sel:DWORD dst_unused:UNUSED_PAD src0_sel:DWORD src1_sel:WORD_1
	v_fma_f16 v66, v56, v67, -v66
	v_mul_f16_sdwa v56, v56, v67 dst_sel:DWORD dst_unused:UNUSED_PAD src0_sel:DWORD src1_sel:WORD_1
	v_fma_f16 v56, v65, v67, v56
	v_pack_b32_f16 v56, v66, v56
	v_add_u32_e32 v65, 0x700, v31
	ds_write2_b32 v65, v48, v56 offset0:47 offset1:212
	v_lshrrev_b32_e32 v48, 16, v58
	v_mul_f16_sdwa v56, v48, v64 dst_sel:DWORD dst_unused:UNUSED_PAD src0_sel:DWORD src1_sel:WORD_1
	v_fma_f16 v56, v58, v64, -v56
	v_mul_f16_sdwa v58, v58, v64 dst_sel:DWORD dst_unused:UNUSED_PAD src0_sel:DWORD src1_sel:WORD_1
	v_fma_f16 v48, v48, v64, v58
	v_pack_b32_f16 v48, v56, v48
	v_lshrrev_b32_e32 v56, 16, v55
	s_waitcnt vmcnt(1)
	v_mul_f16_sdwa v58, v56, v69 dst_sel:DWORD dst_unused:UNUSED_PAD src0_sel:DWORD src1_sel:WORD_1
	v_fma_f16 v58, v55, v69, -v58
	v_mul_f16_sdwa v55, v55, v69 dst_sel:DWORD dst_unused:UNUSED_PAD src0_sel:DWORD src1_sel:WORD_1
	v_fma_f16 v55, v56, v69, v55
	v_pack_b32_f16 v49, v71, v49
	v_pack_b32_f16 v55, v58, v55
	v_add_u32_e32 v56, 0x200, v31
	ds_write2_b32 v56, v49, v55 offset0:37 offset1:202
	v_lshrrev_b32_e32 v49, 16, v57
	v_mul_f16_sdwa v55, v49, v68 dst_sel:DWORD dst_unused:UNUSED_PAD src0_sel:DWORD src1_sel:WORD_1
	v_fma_f16 v55, v57, v68, -v55
	v_mul_f16_sdwa v56, v57, v68 dst_sel:DWORD dst_unused:UNUSED_PAD src0_sel:DWORD src1_sel:WORD_1
	ds_read_b32 v57, v31 offset:5280
	v_fma_f16 v49, v49, v68, v56
	v_pack_b32_f16 v49, v55, v49
	v_add_u32_e32 v55, 0xc00, v31
	ds_write2_b32 v55, v49, v60 offset0:57 offset1:222
	s_waitcnt lgkmcnt(1)
	v_lshrrev_b32_e32 v49, 16, v57
	s_waitcnt vmcnt(0)
	v_mul_f16_sdwa v55, v49, v70 dst_sel:DWORD dst_unused:UNUSED_PAD src0_sel:DWORD src1_sel:WORD_1
	v_mul_f16_sdwa v56, v57, v70 dst_sel:DWORD dst_unused:UNUSED_PAD src0_sel:DWORD src1_sel:WORD_1
	v_fma_f16 v55, v57, v70, -v55
	v_fma_f16 v49, v49, v70, v56
	v_pack_b32_f16 v49, v55, v49
	ds_write2_b32 v59, v48, v49 offset0:3 offset1:168
	s_waitcnt lgkmcnt(0)
	s_barrier
	ds_read2_b32 v[55:56], v61 offset0:74 offset1:239
	ds_read2_b32 v[57:58], v63 offset0:20 offset1:185
	ds_read_b32 v49, v31 offset:5280
	s_waitcnt lgkmcnt(1)
	v_pk_add_f16 v48, v55, v58
	s_waitcnt lgkmcnt(0)
	v_pk_add_f16 v59, v58, v49
	v_pk_fma_f16 v55, v59, 0.5, v55 op_sel_hi:[1,0,1] neg_lo:[1,0,0] neg_hi:[1,0,0]
	ds_read2_b32 v[59:60], v31 offset1:165
	ds_read2_b32 v[61:62], v62 offset0:30 offset1:195
	s_waitcnt lgkmcnt(0)
	s_barrier
	v_pk_add_f16 v63, v59, v56
	v_pk_add_f16 v64, v56, v61
	v_pk_add_f16 v56, v56, v61 neg_lo:[0,1] neg_hi:[0,1]
	v_pk_fma_f16 v59, v64, 0.5, v59 op_sel_hi:[1,0,1] neg_lo:[1,0,0] neg_hi:[1,0,0]
	v_pk_mul_f16 v56, v56, s6 op_sel_hi:[1,0]
	v_pk_add_f16 v63, v63, v61
	v_pk_add_f16 v61, v59, v56 op_sel:[0,1] op_sel_hi:[1,0] neg_lo:[0,1] neg_hi:[0,1]
	v_pk_add_f16 v56, v59, v56 op_sel:[0,1] op_sel_hi:[1,0]
	v_bfi_b32 v59, s2, v61, v56
	v_bfi_b32 v56, s2, v56, v61
	ds_write2_b32 v29, v63, v59 offset1:1
	ds_write_b32 v29, v56 offset:8
	v_pk_add_f16 v29, v57, v62
	v_pk_add_f16 v58, v58, v49 neg_lo:[0,1] neg_hi:[0,1]
	v_pk_fma_f16 v56, v29, 0.5, v60 op_sel_hi:[1,0,1] neg_lo:[1,0,0] neg_hi:[1,0,0]
	v_pk_add_f16 v29, v57, v62 neg_lo:[0,1] neg_hi:[0,1]
	v_pk_add_f16 v48, v48, v49
	v_pk_fma_f16 v49, v58, s6, v55 op_sel:[0,0,1] op_sel_hi:[1,0,0] neg_lo:[1,0,0] neg_hi:[1,0,0]
	v_pk_fma_f16 v55, v58, s6, v55 op_sel:[0,0,1] op_sel_hi:[1,0,0]
	v_pk_add_f16 v58, v60, v57
	v_pk_mul_f16 v57, v29, s6 op_sel_hi:[1,0]
	v_pk_add_f16 v29, v56, v57 op_sel:[0,1] op_sel_hi:[1,0]
	v_pk_add_f16 v57, v56, v57 op_sel:[0,1] op_sel_hi:[1,0] neg_lo:[0,1] neg_hi:[0,1]
	v_pk_add_f16 v58, v58, v62
	v_bfi_b32 v56, s2, v57, v29
	ds_write2_b32 v30, v58, v56 offset1:1
	v_bfi_b32 v56, s2, v29, v57
	ds_write_b32 v30, v56 offset:8
	ds_write_b32 v46, v48
	v_alignbit_b32 v30, v49, v55, 16
	v_alignbit_b32 v56, v55, v49, 16
	ds_write2_b32 v46, v56, v30 offset0:1 offset1:2
	s_waitcnt lgkmcnt(0)
	s_barrier
	ds_read_b32 v30, v31
	ds_read_b32 v60, v31 offset:1188
	ds_read_b32 v59, v31 offset:2376
	;; [unrolled: 1-line block ×4, first 2 shown]
	v_lshrrev_b32_e32 v58, 16, v49
	v_lshrrev_b32_e32 v57, 16, v57
	s_and_saveexec_b64 s[2:3], vcc
	s_cbranch_execz .LBB0_11
; %bb.10:
	ds_read_b32 v29, v31 offset:660
	ds_read_b32 v55, v31 offset:4224
	;; [unrolled: 1-line block ×5, first 2 shown]
	s_waitcnt lgkmcnt(4)
	v_lshrrev_b32_e32 v57, 16, v29
	s_waitcnt lgkmcnt(3)
	v_lshrrev_b32_e32 v49, 16, v55
	;; [unrolled: 2-line block ×3, first 2 shown]
	s_waitcnt lgkmcnt(1)
	v_alignbit_b32 v55, v55, v58, 16
.LBB0_11:
	s_or_b64 exec, exec, s[2:3]
	s_waitcnt lgkmcnt(3)
	v_lshrrev_b32_e32 v62, 16, v60
	v_mul_f16_sdwa v66, v0, v62 dst_sel:DWORD dst_unused:UNUSED_PAD src0_sel:WORD_1 src1_sel:DWORD
	s_waitcnt lgkmcnt(2)
	v_lshrrev_b32_e32 v63, 16, v59
	v_fma_f16 v66, v0, v60, v66
	v_mul_f16_sdwa v60, v0, v60 dst_sel:DWORD dst_unused:UNUSED_PAD src0_sel:WORD_1 src1_sel:DWORD
	v_fma_f16 v60, v0, v62, -v60
	v_mul_f16_sdwa v0, v1, v63 dst_sel:DWORD dst_unused:UNUSED_PAD src0_sel:WORD_1 src1_sel:DWORD
	s_waitcnt lgkmcnt(1)
	v_lshrrev_b32_e32 v64, 16, v56
	v_fma_f16 v62, v1, v59, v0
	v_mul_f16_sdwa v0, v1, v59 dst_sel:DWORD dst_unused:UNUSED_PAD src0_sel:WORD_1 src1_sel:DWORD
	v_fma_f16 v59, v1, v63, -v0
	;; [unrolled: 6-line block ×3, first 2 shown]
	v_mul_f16_sdwa v0, v3, v65 dst_sel:DWORD dst_unused:UNUSED_PAD src0_sel:WORD_1 src1_sel:DWORD
	v_fma_f16 v64, v3, v46, v0
	v_mul_f16_sdwa v0, v3, v46 dst_sel:DWORD dst_unused:UNUSED_PAD src0_sel:WORD_1 src1_sel:DWORD
	v_fma_f16 v3, v3, v65, -v0
	v_lshrrev_b32_e32 v0, 16, v48
	v_mul_f16_sdwa v1, v4, v0 dst_sel:DWORD dst_unused:UNUSED_PAD src0_sel:WORD_1 src1_sel:DWORD
	v_fma_f16 v65, v4, v48, v1
	v_mul_f16_sdwa v1, v4, v48 dst_sel:DWORD dst_unused:UNUSED_PAD src0_sel:WORD_1 src1_sel:DWORD
	v_fma_f16 v67, v4, v0, -v1
	v_mul_f16_sdwa v0, v5, v55 dst_sel:DWORD dst_unused:UNUSED_PAD src0_sel:WORD_1 src1_sel:DWORD
	v_fma_f16 v68, v5, v58, v0
	v_mul_f16_sdwa v0, v5, v58 dst_sel:DWORD dst_unused:UNUSED_PAD src0_sel:WORD_1 src1_sel:DWORD
	v_fma_f16 v58, v5, v55, -v0
	v_lshrrev_b32_e32 v0, 16, v55
	v_mul_f16_sdwa v1, v6, v49 dst_sel:DWORD dst_unused:UNUSED_PAD src0_sel:WORD_1 src1_sel:DWORD
	v_fma_f16 v69, v6, v0, v1
	v_mul_f16_sdwa v0, v6, v0 dst_sel:DWORD dst_unused:UNUSED_PAD src0_sel:WORD_1 src1_sel:DWORD
	v_fma_f16 v70, v6, v49, -v0
	v_mul_f16_sdwa v0, v7, v54 dst_sel:DWORD dst_unused:UNUSED_PAD src0_sel:WORD_1 src1_sel:DWORD
	v_add_f16_e32 v1, v62, v63
	v_fma_f16 v71, v7, v53, v0
	v_mul_f16_sdwa v0, v7, v53 dst_sel:DWORD dst_unused:UNUSED_PAD src0_sel:WORD_1 src1_sel:DWORD
	v_fma_f16 v2, v1, -0.5, v30
	v_sub_f16_e32 v5, v60, v3
	s_mov_b32 s2, 0xbb9c
	s_movk_i32 s7, 0x3b9c
	v_fma_f16 v72, v7, v54, -v0
	v_fma_f16 v1, v5, s2, v2
	v_sub_f16_e32 v6, v59, v56
	s_mov_b32 s3, 0xb8b4
	v_sub_f16_e32 v4, v66, v62
	v_sub_f16_e32 v7, v64, v63
	v_fma_f16 v2, v5, s7, v2
	s_movk_i32 s12, 0x38b4
	v_fma_f16 v1, v6, s3, v1
	v_add_f16_e32 v4, v4, v7
	s_movk_i32 s6, 0x34f2
	v_fma_f16 v2, v6, s12, v2
	v_fma_f16 v1, v4, s6, v1
	;; [unrolled: 1-line block ×3, first 2 shown]
	v_add_f16_e32 v4, v66, v64
	v_fma_f16 v7, v4, -0.5, v30
	v_lshrrev_b32_e32 v61, 16, v30
	v_fma_f16 v4, v6, s7, v7
	v_fma_f16 v6, v6, s2, v7
	;; [unrolled: 1-line block ×4, first 2 shown]
	v_add_f16_e32 v6, v61, v60
	v_add_f16_e32 v6, v6, v59
	;; [unrolled: 1-line block ×3, first 2 shown]
	v_sub_f16_e32 v30, v62, v66
	v_sub_f16_e32 v46, v63, v64
	v_add_f16_e32 v6, v6, v56
	v_add_f16_e32 v30, v30, v46
	;; [unrolled: 1-line block ×4, first 2 shown]
	v_fma_f16 v6, v6, -0.5, v61
	v_sub_f16_e32 v7, v66, v64
	v_fma_f16 v4, v30, s6, v4
	v_fma_f16 v5, v30, s6, v5
	;; [unrolled: 1-line block ×3, first 2 shown]
	v_sub_f16_e32 v49, v62, v63
	v_sub_f16_e32 v48, v60, v59
	;; [unrolled: 1-line block ×3, first 2 shown]
	v_fma_f16 v6, v7, s2, v6
	v_fma_f16 v30, v49, s12, v30
	v_add_f16_e32 v48, v48, v53
	v_fma_f16 v6, v49, s3, v6
	v_fma_f16 v54, v48, s6, v30
	;; [unrolled: 1-line block ×3, first 2 shown]
	v_add_f16_e32 v6, v60, v3
	v_fma_f16 v6, v6, -0.5, v61
	v_fma_f16 v30, v49, s2, v6
	v_sub_f16_e32 v53, v59, v60
	v_sub_f16_e32 v3, v56, v3
	v_fma_f16 v6, v49, s7, v6
	v_add_f16_e32 v3, v53, v3
	v_fma_f16 v6, v7, s3, v6
	v_fma_f16 v49, v3, s6, v6
	v_add_f16_e32 v6, v68, v69
	v_fma_f16 v30, v7, s12, v30
	v_fma_f16 v7, v6, -0.5, v29
	v_sub_f16_e32 v55, v67, v72
	v_fma_f16 v53, v3, s6, v30
	v_fma_f16 v6, v55, s2, v7
	v_sub_f16_e32 v56, v58, v70
	v_sub_f16_e32 v30, v65, v68
	;; [unrolled: 1-line block ×3, first 2 shown]
	v_fma_f16 v7, v55, s7, v7
	v_fma_f16 v6, v56, s3, v6
	v_add_f16_e32 v30, v30, v59
	v_fma_f16 v7, v56, s12, v7
	v_fma_f16 v6, v30, s6, v6
	;; [unrolled: 1-line block ×3, first 2 shown]
	v_add_f16_e32 v7, v65, v71
	v_add_f16_e32 v3, v65, v29
	v_fma_f16 v29, v7, -0.5, v29
	v_fma_f16 v7, v56, s7, v29
	v_sub_f16_e32 v59, v68, v65
	v_sub_f16_e32 v60, v69, v71
	v_fma_f16 v29, v56, s2, v29
	v_fma_f16 v7, v55, s3, v7
	v_add_f16_e32 v59, v59, v60
	v_fma_f16 v29, v55, s12, v29
	v_add_f16_e32 v56, v58, v70
	v_add_f16_e32 v0, v0, v62
	v_fma_f16 v7, v59, s6, v7
	v_fma_f16 v29, v59, s6, v29
	v_fma_f16 v59, v56, -0.5, v57
	v_sub_f16_e32 v60, v65, v71
	v_add_f16_e32 v0, v0, v63
	v_fma_f16 v56, v60, s7, v59
	v_sub_f16_e32 v61, v68, v69
	v_sub_f16_e32 v62, v67, v58
	;; [unrolled: 1-line block ×3, first 2 shown]
	v_fma_f16 v59, v60, s2, v59
	v_fma_f16 v56, v61, s12, v56
	v_add_f16_e32 v62, v62, v63
	v_fma_f16 v59, v61, s3, v59
	v_fma_f16 v56, v62, s6, v56
	;; [unrolled: 1-line block ×3, first 2 shown]
	v_add_f16_e32 v62, v67, v72
	v_add_f16_e32 v55, v67, v57
	v_fma_f16 v62, v62, -0.5, v57
	v_add_f16_e32 v55, v58, v55
	v_fma_f16 v57, v61, s2, v62
	v_sub_f16_e32 v58, v58, v67
	v_sub_f16_e32 v63, v70, v72
	v_fma_f16 v61, v61, s7, v62
	v_add_f16_e32 v0, v0, v64
	v_fma_f16 v57, v60, s12, v57
	v_add_f16_e32 v58, v58, v63
	;; [unrolled: 2-line block ×3, first 2 shown]
	v_fma_f16 v57, v58, s6, v57
	v_fma_f16 v58, v58, s6, v60
	v_pack_b32_f16 v60, v0, v46
	v_pack_b32_f16 v61, v1, v54
	v_add_f16_e32 v3, v69, v3
	v_add_f16_e32 v55, v70, v55
	s_barrier
	ds_write2_b32 v47, v60, v61 offset1:3
	v_pack_b32_f16 v60, v4, v53
	v_pack_b32_f16 v61, v5, v49
	v_add_f16_e32 v3, v71, v3
	v_add_f16_e32 v55, v72, v55
	ds_write2_b32 v47, v60, v61 offset0:6 offset1:9
	v_pack_b32_f16 v60, v2, v48
	ds_write_b32 v47, v60 offset:48
	s_and_saveexec_b64 s[2:3], vcc
	s_cbranch_execz .LBB0_13
; %bb.12:
	v_mad_legacy_u16 v44, v44, 15, v45
	s_mov_b32 s6, 0x5040100
	v_lshlrev_b32_e32 v44, 2, v44
	v_perm_b32 v45, v55, v3, s6
	v_perm_b32 v47, v56, v6, s6
	ds_write2_b32 v44, v45, v47 offset1:3
	v_perm_b32 v45, v57, v7, s6
	v_perm_b32 v47, v58, v29, s6
	ds_write2_b32 v44, v45, v47 offset0:6 offset1:9
	v_perm_b32 v45, v59, v30, s6
	ds_write_b32 v44, v45 offset:48
.LBB0_13:
	s_or_b64 exec, exec, s[2:3]
	s_waitcnt lgkmcnt(0)
	s_barrier
	s_and_saveexec_b64 s[2:3], s[0:1]
	s_cbranch_execz .LBB0_15
; %bb.14:
	v_add_u32_e32 v2, 0x400, v31
	ds_read2_b32 v[4:5], v2 offset0:14 offset1:149
	v_add_u32_e32 v2, 0x800, v31
	v_add_u32_e32 v6, 0xc00, v31
	;; [unrolled: 1-line block ×3, first 2 shown]
	ds_read2_b32 v[0:1], v31 offset1:135
	ds_read2_b32 v[2:3], v2 offset0:28 offset1:163
	ds_read2_b32 v[6:7], v6 offset0:42 offset1:177
	;; [unrolled: 1-line block ×3, first 2 shown]
	ds_read_b32 v51, v31 offset:5400
	s_waitcnt lgkmcnt(4)
	v_lshrrev_b32_e32 v46, 16, v0
	v_lshrrev_b32_e32 v54, 16, v1
	;; [unrolled: 1-line block ×4, first 2 shown]
	s_waitcnt lgkmcnt(3)
	v_lshrrev_b32_e32 v48, 16, v2
	v_lshrrev_b32_e32 v55, 16, v3
	s_waitcnt lgkmcnt(2)
	v_lshrrev_b32_e32 v56, 16, v6
	v_lshrrev_b32_e32 v57, 16, v7
	;; [unrolled: 3-line block ×3, first 2 shown]
	s_waitcnt lgkmcnt(0)
	v_lshrrev_b32_e32 v52, 16, v51
.LBB0_15:
	s_or_b64 exec, exec, s[2:3]
	s_barrier
	s_and_saveexec_b64 s[2:3], s[0:1]
	s_cbranch_execz .LBB0_17
; %bb.16:
	v_mul_f16_sdwa v45, v8, v1 dst_sel:DWORD dst_unused:UNUSED_PAD src0_sel:WORD_1 src1_sel:DWORD
	v_fma_f16 v45, v8, v54, -v45
	v_mul_f16_sdwa v54, v8, v54 dst_sel:DWORD dst_unused:UNUSED_PAD src0_sel:WORD_1 src1_sel:DWORD
	v_mul_f16_sdwa v44, v18, v51 dst_sel:DWORD dst_unused:UNUSED_PAD src0_sel:WORD_1 src1_sel:DWORD
	v_fma_f16 v1, v8, v1, v54
	v_mul_f16_sdwa v54, v9, v4 dst_sel:DWORD dst_unused:UNUSED_PAD src0_sel:WORD_1 src1_sel:DWORD
	v_fma_f16 v44, v18, v52, -v44
	v_mul_f16_sdwa v8, v18, v52 dst_sel:DWORD dst_unused:UNUSED_PAD src0_sel:WORD_1 src1_sel:DWORD
	v_mul_f16_sdwa v52, v17, v30 dst_sel:DWORD dst_unused:UNUSED_PAD src0_sel:WORD_1 src1_sel:DWORD
	v_fma_f16 v54, v9, v53, -v54
	v_mul_f16_sdwa v53, v9, v53 dst_sel:DWORD dst_unused:UNUSED_PAD src0_sel:WORD_1 src1_sel:DWORD
	v_add_f16_e32 v47, v44, v45
	v_fma_f16 v8, v18, v51, v8
	v_fma_f16 v52, v17, v59, -v52
	v_fma_f16 v4, v9, v4, v53
	v_mul_f16_sdwa v9, v17, v59 dst_sel:DWORD dst_unused:UNUSED_PAD src0_sel:WORD_1 src1_sel:DWORD
	v_mul_f16_e32 v60, 0xbbad, v47
	v_sub_f16_e32 v18, v1, v8
	s_movk_i32 s12, 0x3482
	v_add_f16_e32 v61, v52, v54
	v_fma_f16 v9, v17, v30, v9
	v_fma_f16 v51, v18, s12, v60
	v_mul_f16_e32 v62, 0x3abb, v61
	v_sub_f16_e32 v17, v4, v9
	s_mov_b32 s7, 0xb853
	v_add_f16_e32 v51, v46, v51
	v_fma_f16 v30, v17, s7, v62
	v_mul_f16_sdwa v53, v10, v5 dst_sel:DWORD dst_unused:UNUSED_PAD src0_sel:WORD_1 src1_sel:DWORD
	v_add_f16_e32 v30, v30, v51
	v_mul_f16_sdwa v51, v15, v29 dst_sel:DWORD dst_unused:UNUSED_PAD src0_sel:WORD_1 src1_sel:DWORD
	v_fma_f16 v53, v10, v49, -v53
	v_mul_f16_sdwa v49, v10, v49 dst_sel:DWORD dst_unused:UNUSED_PAD src0_sel:WORD_1 src1_sel:DWORD
	v_fma_f16 v51, v15, v58, -v51
	v_fma_f16 v5, v10, v5, v49
	v_mul_f16_sdwa v10, v15, v58 dst_sel:DWORD dst_unused:UNUSED_PAD src0_sel:WORD_1 src1_sel:DWORD
	v_add_f16_e32 v59, v51, v53
	v_fma_f16 v10, v15, v29, v10
	v_mul_f16_e32 v63, 0xb93d, v59
	v_sub_f16_e32 v15, v5, v10
	s_movk_i32 s21, 0x3a0c
	v_fma_f16 v29, v15, s21, v63
	v_mul_f16_sdwa v49, v11, v2 dst_sel:DWORD dst_unused:UNUSED_PAD src0_sel:WORD_1 src1_sel:DWORD
	v_add_f16_e32 v29, v29, v30
	v_mul_f16_sdwa v30, v14, v7 dst_sel:DWORD dst_unused:UNUSED_PAD src0_sel:WORD_1 src1_sel:DWORD
	v_fma_f16 v49, v11, v48, -v49
	v_mul_f16_sdwa v48, v11, v48 dst_sel:DWORD dst_unused:UNUSED_PAD src0_sel:WORD_1 src1_sel:DWORD
	v_fma_f16 v30, v14, v57, -v30
	v_fma_f16 v2, v11, v2, v48
	v_mul_f16_sdwa v11, v14, v57 dst_sel:DWORD dst_unused:UNUSED_PAD src0_sel:WORD_1 src1_sel:DWORD
	v_add_f16_e32 v58, v30, v49
	v_fma_f16 v7, v14, v7, v11
	v_mul_f16_e32 v64, 0x36a6, v58
	v_sub_f16_e32 v11, v2, v7
	s_mov_b32 s15, 0xbb47
	v_fma_f16 v14, v11, s15, v64
	v_mul_f16_sdwa v48, v12, v3 dst_sel:DWORD dst_unused:UNUSED_PAD src0_sel:WORD_1 src1_sel:DWORD
	v_add_f16_e32 v14, v14, v29
	v_mul_f16_sdwa v29, v13, v6 dst_sel:DWORD dst_unused:UNUSED_PAD src0_sel:WORD_1 src1_sel:DWORD
	v_fma_f16 v48, v12, v55, -v48
	v_mul_f16_sdwa v55, v12, v55 dst_sel:DWORD dst_unused:UNUSED_PAD src0_sel:WORD_1 src1_sel:DWORD
	v_fma_f16 v29, v13, v56, -v29
	v_fma_f16 v3, v12, v3, v55
	v_mul_f16_sdwa v12, v13, v56 dst_sel:DWORD dst_unused:UNUSED_PAD src0_sel:WORD_1 src1_sel:DWORD
	v_add_f16_e32 v57, v29, v48
	v_fma_f16 v6, v13, v6, v12
	v_mul_f16_e32 v65, 0xb08e, v57
	v_sub_f16_e32 v12, v3, v6
	s_movk_i32 s18, 0x3beb
	v_fma_f16 v13, v12, s18, v65
	v_sub_f16_e32 v55, v45, v44
	s_mov_b32 s0, 0xbbad
	v_add_f16_e32 v13, v13, v14
	v_add_f16_e32 v14, v8, v1
	v_mul_f16_e32 v56, 0xb482, v55
	v_sub_f16_e32 v68, v54, v52
	s_movk_i32 s1, 0x3abb
	v_fma_f16 v66, v14, s0, v56
	v_add_f16_e32 v67, v9, v4
	v_mul_f16_e32 v69, 0x3853, v68
	v_add_f16_e32 v66, v0, v66
	v_fma_f16 v70, v67, s1, v69
	v_sub_f16_e32 v71, v53, v51
	s_mov_b32 s6, 0xb93d
	v_add_f16_e32 v66, v70, v66
	v_add_f16_e32 v70, v10, v5
	v_mul_f16_e32 v72, 0xba0c, v71
	v_fma_f16 v73, v70, s6, v72
	v_sub_f16_e32 v74, v49, v30
	s_movk_i32 s13, 0x36a6
	v_add_f16_e32 v66, v73, v66
	v_add_f16_e32 v73, v7, v2
	v_mul_f16_e32 v75, 0x3b47, v74
	v_fma_f16 v76, v73, s13, v75
	v_sub_f16_e32 v77, v48, v29
	s_mov_b32 s14, 0xb08e
	v_add_f16_e32 v66, v76, v66
	v_add_f16_e32 v76, v6, v3
	v_mul_f16_e32 v78, 0xbbeb, v77
	v_fma_f16 v79, v76, s14, v78
	v_add_f16_e32 v66, v79, v66
	v_mul_f16_e32 v79, 0xb93d, v47
	s_mov_b32 s20, 0xbbeb
	v_fma_f16 v80, v18, s21, v79
	v_mul_f16_e32 v81, 0xb08e, v61
	v_add_f16_e32 v80, v46, v80
	v_fma_f16 v82, v17, s20, v81
	s_movk_i32 s19, 0x3853
	v_add_f16_e32 v80, v82, v80
	v_mul_f16_e32 v82, 0x3abb, v59
	v_fma_f16 v83, v15, s19, v82
	v_add_f16_e32 v80, v83, v80
	v_mul_f16_e32 v83, 0xbbad, v58
	v_fma_f16 v84, v11, s12, v83
	;; [unrolled: 3-line block ×4, first 2 shown]
	v_mul_f16_e32 v87, 0x3beb, v68
	v_add_f16_e32 v86, v0, v86
	v_fma_f16 v88, v67, s14, v87
	v_add_f16_e32 v86, v88, v86
	v_mul_f16_e32 v88, 0xb853, v71
	v_fma_f16 v89, v70, s1, v88
	v_add_f16_e32 v86, v89, v86
	v_mul_f16_e32 v89, 0xb482, v74
	;; [unrolled: 3-line block ×4, first 2 shown]
	s_mov_b32 s16, 0xb482
	v_fma_f16 v92, v18, s18, v91
	v_mul_f16_e32 v93, 0xbbad, v61
	v_add_f16_e32 v92, v46, v92
	v_fma_f16 v94, v17, s16, v93
	v_add_f16_e32 v1, v0, v1
	v_add_f16_e32 v92, v94, v92
	v_mul_f16_e32 v94, 0x36a6, v59
	v_add_f16_e32 v1, v4, v1
	v_fma_f16 v95, v15, s15, v94
	v_add_f16_e32 v1, v5, v1
	v_add_f16_e32 v92, v95, v92
	v_mul_f16_e32 v95, 0x3abb, v58
	v_add_f16_e32 v1, v2, v1
	v_fma_f16 v96, v11, s19, v95
	v_add_f16_e32 v1, v3, v1
	v_fma_f16 v3, v18, s16, v60
	s_mov_b32 s17, 0xba0c
	v_add_f16_e32 v92, v96, v92
	v_mul_f16_e32 v96, 0xb93d, v57
	v_add_f16_e32 v3, v46, v3
	v_fma_f16 v4, v17, s19, v62
	s_movk_i32 s22, 0x3b47
	v_fma_f16 v97, v12, s21, v96
	v_add_f16_e32 v3, v4, v3
	v_fma_f16 v4, v15, s17, v63
	v_add_f16_e32 v92, v97, v92
	v_mul_f16_e32 v97, 0xbbeb, v55
	v_add_f16_e32 v3, v4, v3
	v_fma_f16 v4, v11, s22, v64
	v_fma_f16 v98, v14, s14, v97
	v_mul_f16_e32 v99, 0x3482, v68
	v_add_f16_e32 v3, v4, v3
	v_fma_f16 v4, v12, s20, v65
	v_add_f16_e32 v98, v0, v98
	v_fma_f16 v100, v67, s0, v99
	v_add_f16_e32 v3, v4, v3
	v_fma_f16 v4, v14, s0, -v56
	v_add_f16_e32 v98, v100, v98
	v_mul_f16_e32 v100, 0x3b47, v71
	v_add_f16_e32 v4, v0, v4
	v_fma_f16 v5, v67, s1, -v69
	v_fma_f16 v101, v70, s13, v100
	v_add_f16_e32 v4, v5, v4
	v_fma_f16 v5, v70, s6, -v72
	v_add_f16_e32 v98, v101, v98
	v_mul_f16_e32 v101, 0xb853, v74
	v_add_f16_e32 v4, v5, v4
	v_fma_f16 v5, v73, s13, -v75
	v_fma_f16 v102, v73, s1, v101
	v_add_f16_e32 v4, v5, v4
	v_fma_f16 v5, v76, s14, -v78
	v_add_f16_e32 v98, v102, v98
	v_mul_f16_e32 v102, 0xba0c, v77
	v_add_f16_e32 v4, v5, v4
	v_fma_f16 v5, v18, s17, v79
	v_fma_f16 v103, v76, s6, v102
	v_add_f16_e32 v1, v6, v1
	v_add_f16_e32 v5, v46, v5
	v_fma_f16 v6, v17, s18, v81
	v_add_f16_e32 v98, v103, v98
	v_mul_f16_e32 v103, 0x36a6, v47
	v_add_f16_e32 v5, v6, v5
	v_fma_f16 v6, v15, s7, v82
	v_fma_f16 v104, v18, s22, v103
	v_mul_f16_e32 v105, 0xb93d, v61
	v_add_f16_e32 v5, v6, v5
	v_fma_f16 v6, v11, s16, v83
	v_add_f16_e32 v104, v46, v104
	v_fma_f16 v106, v17, s21, v105
	;; [unrolled: 2-line block ×3, first 2 shown]
	v_add_f16_e32 v104, v106, v104
	v_mul_f16_e32 v106, 0xbbad, v59
	v_add_f16_e32 v5, v6, v5
	v_fma_f16 v6, v14, s6, -v85
	v_fma_f16 v107, v15, s16, v106
	v_add_f16_e32 v1, v7, v1
	v_add_f16_e32 v6, v0, v6
	v_fma_f16 v7, v67, s14, -v87
	v_add_f16_e32 v104, v107, v104
	v_mul_f16_e32 v107, 0xb08e, v58
	v_add_f16_e32 v6, v7, v6
	v_fma_f16 v7, v70, s1, -v88
	v_fma_f16 v108, v11, s20, v107
	v_add_f16_e32 v6, v7, v6
	v_fma_f16 v7, v73, s0, -v89
	v_add_f16_e32 v104, v108, v104
	v_mul_f16_e32 v108, 0x3abb, v57
	v_add_f16_e32 v1, v10, v1
	v_add_f16_e32 v6, v7, v6
	v_fma_f16 v7, v76, s13, -v90
	v_fma_f16 v109, v12, s7, v108
	v_add_f16_e32 v1, v9, v1
	v_add_f16_e32 v6, v7, v6
	v_fma_f16 v7, v18, s20, v91
	v_add_f16_e32 v104, v109, v104
	v_mul_f16_e32 v109, 0xbb47, v55
	v_add_f16_e32 v1, v8, v1
	v_add_f16_e32 v7, v46, v7
	v_fma_f16 v8, v17, s12, v93
	v_fma_f16 v110, v14, s13, v109
	v_mul_f16_e32 v111, 0xba0c, v68
	v_add_f16_e32 v7, v8, v7
	v_fma_f16 v8, v15, s22, v94
	v_add_f16_e32 v110, v0, v110
	v_fma_f16 v112, v67, s6, v111
	;; [unrolled: 2-line block ×3, first 2 shown]
	v_add_f16_e32 v110, v112, v110
	v_mul_f16_e32 v112, 0x3482, v71
	v_add_f16_e32 v7, v8, v7
	v_fma_f16 v8, v12, s17, v96
	v_fma_f16 v113, v70, s0, v112
	v_add_f16_e32 v7, v8, v7
	v_fma_f16 v8, v14, s14, -v97
	v_add_f16_e32 v110, v113, v110
	v_mul_f16_e32 v113, 0x3beb, v74
	v_add_f16_e32 v8, v0, v8
	v_fma_f16 v9, v67, s0, -v99
	v_fma_f16 v114, v73, s14, v113
	v_add_f16_e32 v8, v9, v8
	v_fma_f16 v9, v70, s13, -v100
	v_add_f16_e32 v110, v114, v110
	v_mul_f16_e32 v114, 0x3853, v77
	v_add_f16_e32 v8, v9, v8
	v_fma_f16 v9, v73, s1, -v101
	v_fma_f16 v115, v76, s1, v114
	v_mul_f16_e32 v47, 0x3abb, v47
	v_add_f16_e32 v8, v9, v8
	v_fma_f16 v9, v76, s6, -v102
	v_add_f16_e32 v110, v115, v110
	v_fma_f16 v115, v18, s19, v47
	v_mul_f16_e32 v61, 0x36a6, v61
	v_add_f16_e32 v8, v9, v8
	v_fma_f16 v9, v18, s15, v103
	v_fma_f16 v18, v18, s7, v47
	v_add_f16_e32 v115, v46, v115
	v_fma_f16 v116, v17, s22, v61
	v_mul_f16_e32 v59, 0xb08e, v59
	v_add_f16_e32 v2, v45, v46
	v_add_f16_e32 v9, v46, v9
	v_fma_f16 v10, v17, s17, v105
	v_add_f16_e32 v18, v46, v18
	v_fma_f16 v17, v17, s15, v61
	v_add_f16_e32 v115, v116, v115
	v_fma_f16 v116, v15, s18, v59
	v_mul_f16_e32 v58, 0xb93d, v58
	v_add_f16_e32 v2, v54, v2
	v_add_f16_e32 v9, v10, v9
	v_fma_f16 v10, v15, s12, v106
	v_add_f16_e32 v17, v17, v18
	;; [unrolled: 8-line block ×4, first 2 shown]
	v_fma_f16 v12, v12, s16, v57
	v_add_f16_e32 v115, v116, v115
	v_fma_f16 v116, v14, s1, v55
	v_mul_f16_e32 v68, 0xbb47, v68
	v_add_f16_e32 v2, v48, v2
	v_add_f16_e32 v9, v10, v9
	v_fma_f16 v10, v14, s13, -v109
	v_add_f16_e32 v11, v12, v11
	v_fma_f16 v12, v14, s1, -v55
	v_add_f16_e32 v116, v0, v116
	v_fma_f16 v117, v67, s13, v68
	v_mul_f16_e32 v71, 0xbbeb, v71
	v_add_f16_e32 v2, v29, v2
	v_add_f16_e32 v10, v0, v10
	;; [unrolled: 1-line block ×3, first 2 shown]
	v_fma_f16 v12, v67, s13, -v68
	v_add_f16_e32 v116, v117, v116
	v_fma_f16 v117, v70, s14, v71
	v_mul_f16_e32 v74, 0xba0c, v74
	v_add_f16_e32 v2, v30, v2
	v_add_f16_e32 v0, v12, v0
	v_fma_f16 v12, v70, s14, -v71
	v_add_f16_e32 v116, v117, v116
	v_fma_f16 v117, v73, s6, v74
	v_mul_f16_e32 v77, 0xb482, v77
	v_add_f16_e32 v2, v51, v2
	v_add_f16_e32 v0, v12, v0
	v_fma_f16 v12, v73, s6, -v74
	v_add_f16_e32 v116, v117, v116
	v_fma_f16 v117, v76, s0, v77
	v_add_f16_e32 v2, v52, v2
	v_add_f16_e32 v0, v12, v0
	v_fma_f16 v12, v76, s0, -v77
	v_add_f16_e32 v116, v117, v116
	v_add_f16_e32 v2, v44, v2
	v_fma_f16 v29, v67, s6, -v111
	v_add_f16_e32 v0, v12, v0
	v_mul_u32_u24_e32 v12, 0xa5, v42
	v_add_f16_e32 v10, v29, v10
	v_fma_f16 v29, v70, s0, -v112
	v_add_lshl_u32 v12, v12, v43, 2
	v_pack_b32_f16 v1, v1, v2
	v_pack_b32_f16 v2, v116, v115
	v_add_f16_e32 v10, v29, v10
	v_fma_f16 v29, v73, s14, -v113
	ds_write2_b32 v12, v1, v2 offset1:15
	v_pack_b32_f16 v1, v110, v104
	v_pack_b32_f16 v2, v98, v92
	v_add_f16_e32 v10, v29, v10
	v_fma_f16 v29, v76, s1, -v114
	ds_write2_b32 v12, v1, v2 offset0:30 offset1:45
	v_pack_b32_f16 v1, v86, v80
	v_pack_b32_f16 v2, v66, v13
	v_add_f16_e32 v10, v29, v10
	ds_write2_b32 v12, v1, v2 offset0:60 offset1:75
	v_pack_b32_f16 v1, v4, v3
	v_pack_b32_f16 v2, v6, v5
	ds_write2_b32 v12, v1, v2 offset0:90 offset1:105
	v_pack_b32_f16 v1, v8, v7
	v_pack_b32_f16 v2, v10, v9
	;; [unrolled: 1-line block ×3, first 2 shown]
	ds_write2_b32 v12, v1, v2 offset0:120 offset1:135
	ds_write_b32 v12, v0 offset:600
.LBB0_17:
	s_or_b64 exec, exec, s[2:3]
	v_add_u32_e32 v12, 0x400, v31
	s_waitcnt lgkmcnt(0)
	s_barrier
	ds_read2_b32 v[4:5], v12 offset0:74 offset1:239
	v_add_u32_e32 v13, 0xf00, v31
	ds_read2_b32 v[6:7], v13 offset0:30 offset1:195
	v_add_u32_e32 v3, 0xa00, v31
	ds_read2_b32 v[8:9], v3 offset0:20 offset1:185
	s_waitcnt lgkmcnt(2)
	v_lshrrev_b32_e32 v10, 16, v5
	v_mul_f16_sdwa v43, v19, v10 dst_sel:DWORD dst_unused:UNUSED_PAD src0_sel:WORD_1 src1_sel:DWORD
	s_waitcnt lgkmcnt(1)
	v_lshrrev_b32_e32 v11, 16, v6
	v_fma_f16 v43, v19, v5, v43
	v_mul_f16_sdwa v5, v19, v5 dst_sel:DWORD dst_unused:UNUSED_PAD src0_sel:WORD_1 src1_sel:DWORD
	v_fma_f16 v5, v19, v10, -v5
	v_mul_f16_sdwa v10, v20, v11 dst_sel:DWORD dst_unused:UNUSED_PAD src0_sel:WORD_1 src1_sel:DWORD
	s_waitcnt lgkmcnt(0)
	v_lshrrev_b32_e32 v17, 16, v8
	v_fma_f16 v10, v20, v6, v10
	v_mul_f16_sdwa v6, v20, v6 dst_sel:DWORD dst_unused:UNUSED_PAD src0_sel:WORD_1 src1_sel:DWORD
	ds_read_b32 v15, v31 offset:5280
	v_fma_f16 v6, v20, v11, -v6
	v_mul_f16_sdwa v11, v19, v17 dst_sel:DWORD dst_unused:UNUSED_PAD src0_sel:WORD_1 src1_sel:DWORD
	v_lshrrev_b32_e32 v18, 16, v7
	v_fma_f16 v11, v19, v8, v11
	v_mul_f16_sdwa v8, v19, v8 dst_sel:DWORD dst_unused:UNUSED_PAD src0_sel:WORD_1 src1_sel:DWORD
	ds_read2_b32 v[0:1], v31 offset1:165
	v_fma_f16 v8, v19, v17, -v8
	v_mul_f16_sdwa v17, v20, v18 dst_sel:DWORD dst_unused:UNUSED_PAD src0_sel:WORD_1 src1_sel:DWORD
	v_lshrrev_b32_e32 v30, 16, v9
	v_fma_f16 v17, v20, v7, v17
	v_mul_f16_sdwa v7, v20, v7 dst_sel:DWORD dst_unused:UNUSED_PAD src0_sel:WORD_1 src1_sel:DWORD
	v_fma_f16 v7, v20, v18, -v7
	v_mul_f16_sdwa v18, v21, v30 dst_sel:DWORD dst_unused:UNUSED_PAD src0_sel:WORD_1 src1_sel:DWORD
	s_waitcnt lgkmcnt(1)
	v_lshrrev_b32_e32 v42, 16, v15
	v_fma_f16 v18, v21, v9, v18
	v_mul_f16_sdwa v9, v21, v9 dst_sel:DWORD dst_unused:UNUSED_PAD src0_sel:WORD_1 src1_sel:DWORD
	v_fma_f16 v9, v21, v30, -v9
	v_mul_f16_sdwa v19, v22, v42 dst_sel:DWORD dst_unused:UNUSED_PAD src0_sel:WORD_1 src1_sel:DWORD
	v_add_f16_e32 v21, v43, v10
	s_waitcnt lgkmcnt(0)
	v_lshrrev_b32_e32 v2, 16, v0
	v_fma_f16 v19, v22, v15, v19
	v_mul_f16_sdwa v15, v22, v15 dst_sel:DWORD dst_unused:UNUSED_PAD src0_sel:WORD_1 src1_sel:DWORD
	v_add_f16_e32 v20, v0, v43
	v_fma_f16 v0, v21, -0.5, v0
	v_sub_f16_e32 v21, v5, v6
	s_mov_b32 s0, 0xbaee
	s_movk_i32 s1, 0x3aee
	v_fma_f16 v15, v22, v42, -v15
	v_fma_f16 v22, v21, s0, v0
	v_fma_f16 v0, v21, s1, v0
	v_add_f16_e32 v21, v2, v5
	v_add_f16_e32 v5, v5, v6
	;; [unrolled: 1-line block ×3, first 2 shown]
	v_fma_f16 v2, v5, -0.5, v2
	v_sub_f16_e32 v5, v43, v10
	v_add_f16_e32 v10, v11, v17
	v_lshrrev_b32_e32 v14, 16, v1
	v_add_f16_e32 v21, v21, v6
	v_fma_f16 v6, v5, s1, v2
	v_fma_f16 v2, v5, s0, v2
	v_add_f16_e32 v5, v1, v11
	v_fma_f16 v1, v10, -0.5, v1
	v_sub_f16_e32 v10, v8, v7
	v_fma_f16 v30, v10, s0, v1
	v_fma_f16 v1, v10, s1, v1
	v_add_f16_e32 v10, v14, v8
	v_add_f16_e32 v10, v10, v7
	;; [unrolled: 1-line block ×3, first 2 shown]
	v_fma_f16 v7, v7, -0.5, v14
	v_sub_f16_e32 v8, v11, v17
	v_add_f16_e32 v14, v18, v19
	v_lshrrev_b32_e32 v29, 16, v4
	v_fma_f16 v11, v8, s1, v7
	v_fma_f16 v7, v8, s0, v7
	v_add_f16_e32 v8, v4, v18
	v_fma_f16 v4, v14, -0.5, v4
	v_sub_f16_e32 v14, v9, v15
	v_add_f16_e32 v5, v5, v17
	v_fma_f16 v17, v14, s0, v4
	v_fma_f16 v4, v14, s1, v4
	v_add_f16_e32 v14, v29, v9
	v_add_f16_e32 v9, v9, v15
	v_add_f16_e32 v14, v14, v15
	v_fma_f16 v9, v9, -0.5, v29
	v_sub_f16_e32 v15, v18, v19
	v_fma_f16 v18, v15, s1, v9
	v_fma_f16 v9, v15, s0, v9
	v_pack_b32_f16 v15, v20, v21
	v_pack_b32_f16 v6, v22, v6
	;; [unrolled: 1-line block ×4, first 2 shown]
	v_add_f16_e32 v8, v8, v19
	s_barrier
	ds_write2_b32 v31, v15, v6 offset1:165
	ds_write2_b32 v12, v0, v2 offset0:74 offset1:239
	v_pack_b32_f16 v0, v30, v11
	v_pack_b32_f16 v1, v1, v7
	ds_write2_b32 v3, v0, v1 offset0:20 offset1:185
	v_pack_b32_f16 v0, v8, v14
	v_pack_b32_f16 v1, v17, v18
	v_add_u32_e32 v2, 0xf00, v50
	ds_write2_b32 v2, v0, v1 offset0:30 offset1:195
	v_pack_b32_f16 v0, v4, v9
	ds_write_b32 v50, v0 offset:5280
	s_waitcnt lgkmcnt(0)
	s_barrier
	ds_read2_b32 v[0:1], v31 offset1:165
	ds_read2_b32 v[4:5], v12 offset0:74 offset1:239
	ds_read2_b32 v[6:7], v13 offset0:30 offset1:195
	;; [unrolled: 1-line block ×3, first 2 shown]
	ds_read_b32 v15, v31 offset:5280
	s_waitcnt lgkmcnt(4)
	v_lshrrev_b32_e32 v2, 16, v0
	s_waitcnt lgkmcnt(3)
	v_lshrrev_b32_e32 v10, 16, v5
	v_mul_f16_sdwa v22, v23, v10 dst_sel:DWORD dst_unused:UNUSED_PAD src0_sel:WORD_1 src1_sel:DWORD
	s_waitcnt lgkmcnt(2)
	v_lshrrev_b32_e32 v11, 16, v6
	v_fma_f16 v22, v23, v5, v22
	v_mul_f16_sdwa v5, v23, v5 dst_sel:DWORD dst_unused:UNUSED_PAD src0_sel:WORD_1 src1_sel:DWORD
	v_fma_f16 v5, v23, v10, -v5
	v_mul_f16_sdwa v10, v24, v11 dst_sel:DWORD dst_unused:UNUSED_PAD src0_sel:WORD_1 src1_sel:DWORD
	s_waitcnt lgkmcnt(1)
	v_lshrrev_b32_e32 v17, 16, v8
	v_fma_f16 v10, v24, v6, v10
	v_mul_f16_sdwa v6, v24, v6 dst_sel:DWORD dst_unused:UNUSED_PAD src0_sel:WORD_1 src1_sel:DWORD
	v_fma_f16 v6, v24, v11, -v6
	v_mul_f16_sdwa v11, v25, v17 dst_sel:DWORD dst_unused:UNUSED_PAD src0_sel:WORD_1 src1_sel:DWORD
	v_lshrrev_b32_e32 v18, 16, v7
	v_fma_f16 v11, v25, v8, v11
	v_mul_f16_sdwa v8, v25, v8 dst_sel:DWORD dst_unused:UNUSED_PAD src0_sel:WORD_1 src1_sel:DWORD
	v_fma_f16 v8, v25, v17, -v8
	v_mul_f16_sdwa v17, v26, v18 dst_sel:DWORD dst_unused:UNUSED_PAD src0_sel:WORD_1 src1_sel:DWORD
	;; [unrolled: 5-line block ×3, first 2 shown]
	s_waitcnt lgkmcnt(0)
	v_lshrrev_b32_e32 v21, 16, v15
	v_fma_f16 v18, v27, v9, v18
	v_mul_f16_sdwa v9, v27, v9 dst_sel:DWORD dst_unused:UNUSED_PAD src0_sel:WORD_1 src1_sel:DWORD
	v_fma_f16 v9, v27, v20, -v9
	v_mul_f16_sdwa v20, v28, v21 dst_sel:DWORD dst_unused:UNUSED_PAD src0_sel:WORD_1 src1_sel:DWORD
	v_fma_f16 v20, v28, v15, v20
	v_mul_f16_sdwa v15, v28, v15 dst_sel:DWORD dst_unused:UNUSED_PAD src0_sel:WORD_1 src1_sel:DWORD
	v_add_f16_e32 v23, v22, v10
	v_fma_f16 v15, v28, v21, -v15
	v_add_f16_e32 v21, v0, v22
	v_fma_f16 v0, v23, -0.5, v0
	v_sub_f16_e32 v23, v5, v6
	v_fma_f16 v24, v23, s0, v0
	v_fma_f16 v0, v23, s1, v0
	v_add_f16_e32 v23, v2, v5
	v_add_f16_e32 v5, v5, v6
	;; [unrolled: 1-line block ×3, first 2 shown]
	v_fma_f16 v2, v5, -0.5, v2
	v_sub_f16_e32 v5, v22, v10
	v_add_f16_e32 v10, v11, v17
	v_lshrrev_b32_e32 v14, 16, v1
	v_add_f16_e32 v23, v23, v6
	v_fma_f16 v6, v5, s1, v2
	v_fma_f16 v2, v5, s0, v2
	v_add_f16_e32 v5, v1, v11
	v_fma_f16 v1, v10, -0.5, v1
	v_sub_f16_e32 v10, v8, v7
	v_fma_f16 v22, v10, s0, v1
	v_fma_f16 v1, v10, s1, v1
	v_add_f16_e32 v10, v14, v8
	v_add_f16_e32 v10, v10, v7
	;; [unrolled: 1-line block ×3, first 2 shown]
	v_fma_f16 v7, v7, -0.5, v14
	v_sub_f16_e32 v8, v11, v17
	v_add_f16_e32 v14, v18, v20
	v_lshrrev_b32_e32 v19, 16, v4
	v_fma_f16 v11, v8, s1, v7
	v_fma_f16 v7, v8, s0, v7
	v_add_f16_e32 v8, v4, v18
	v_fma_f16 v4, v14, -0.5, v4
	v_sub_f16_e32 v14, v9, v15
	v_add_f16_e32 v5, v5, v17
	v_fma_f16 v17, v14, s0, v4
	v_fma_f16 v4, v14, s1, v4
	v_add_f16_e32 v14, v19, v9
	v_add_f16_e32 v9, v9, v15
	;; [unrolled: 1-line block ×4, first 2 shown]
	v_fma_f16 v9, v9, -0.5, v19
	v_sub_f16_e32 v15, v18, v20
	v_pack_b32_f16 v0, v0, v2
	v_fma_f16 v18, v15, s1, v9
	v_fma_f16 v9, v15, s0, v9
	v_pack_b32_f16 v15, v21, v23
	v_pack_b32_f16 v6, v24, v6
	ds_write_b32 v31, v0 offset:3960
	v_pack_b32_f16 v0, v5, v10
	v_pack_b32_f16 v2, v8, v14
	ds_write_b32 v31, v6 offset:1980
	ds_write2_b32 v31, v15, v0 offset1:165
	v_pack_b32_f16 v0, v22, v11
	ds_write_b32 v31, v2 offset:1320
	v_pack_b32_f16 v2, v17, v18
	v_pack_b32_f16 v1, v1, v7
	ds_write2_b32 v3, v0, v2 offset0:20 offset1:185
	v_pack_b32_f16 v0, v4, v9
	v_add_u32_e32 v2, 0x1200, v31
	ds_write2_b32 v2, v1, v0 offset0:3 offset1:168
	s_waitcnt lgkmcnt(0)
	s_barrier
	ds_read2_b32 v[4:5], v31 offset1:165
	s_mov_b32 s2, 0xef473283
	s_mov_b32 s3, 0x3f4610e4
	v_mad_u64_u32 v[6:7], s[0:1], s10, v16, 0
	s_waitcnt lgkmcnt(0)
	v_lshrrev_b32_e32 v9, 16, v4
	v_mul_f16_sdwa v0, v41, v9 dst_sel:DWORD dst_unused:UNUSED_PAD src0_sel:WORD_1 src1_sel:DWORD
	v_fma_f16 v0, v41, v4, v0
	v_cvt_f32_f16_e32 v0, v0
	s_movk_i32 s6, 0x1ff
	v_mov_b32_e32 v2, v7
	v_mad_u64_u32 v[7:8], s[0:1], s11, v16, v[2:3]
	v_cvt_f64_f32_e32 v[0:1], v0
	s_movk_i32 s7, 0xffe
	v_mul_f16_sdwa v4, v41, v4 dst_sel:DWORD dst_unused:UNUSED_PAD src0_sel:WORD_1 src1_sel:DWORD
	v_fma_f16 v4, v41, v9, -v4
	v_mul_f64 v[0:1], v[0:1], s[2:3]
	v_cvt_f32_f16_e32 v4, v4
	s_movk_i32 s10, 0x40f
	s_mov_b32 s11, 0x8000
	v_lshlrev_b64 v[6:7], 2, v[6:7]
	v_and_or_b32 v0, v1, s6, v0
	v_cmp_ne_u32_e32 vcc, 0, v0
	v_cndmask_b32_e64 v0, 0, 1, vcc
	v_lshrrev_b32_e32 v2, 8, v1
	v_bfe_u32 v8, v1, 20, 11
	v_and_or_b32 v0, v2, s7, v0
	v_sub_u32_e32 v10, 0x3f1, v8
	v_or_b32_e32 v2, 0x1000, v0
	v_med3_i32 v10, v10, 0, 13
	v_lshrrev_b32_e32 v11, v10, v2
	v_lshlrev_b32_e32 v10, v10, v11
	v_cmp_ne_u32_e32 vcc, v10, v2
	v_cndmask_b32_e64 v2, 0, 1, vcc
	v_add_u32_e32 v10, 0xfffffc10, v8
	v_or_b32_e32 v2, v11, v2
	v_lshl_or_b32 v8, v10, 12, v0
	v_cmp_gt_i32_e32 vcc, 1, v10
	v_cndmask_b32_e32 v2, v8, v2, vcc
	v_and_b32_e32 v8, 7, v2
	v_cmp_lt_i32_e32 vcc, 5, v8
	v_cmp_eq_u32_e64 s[0:1], 3, v8
	v_cvt_f64_f32_e32 v[8:9], v4
	v_lshrrev_b32_e32 v2, 2, v2
	s_or_b64 vcc, s[0:1], vcc
	v_addc_co_u32_e32 v11, vcc, 0, v2, vcc
	v_mul_f64 v[8:9], v[8:9], s[2:3]
	v_mov_b32_e32 v2, 0x7c00
	v_cmp_gt_i32_e32 vcc, 31, v10
	v_cndmask_b32_e32 v4, v2, v11, vcc
	v_cmp_ne_u32_e32 vcc, 0, v0
	v_cndmask_b32_e64 v0, 0, 1, vcc
	v_lshl_or_b32 v0, v0, 9, v2
	v_cmp_eq_u32_e32 vcc, s10, v10
	v_cndmask_b32_e32 v0, v4, v0, vcc
	v_lshrrev_b32_e32 v1, 16, v1
	v_and_or_b32 v14, v1, s11, v0
	v_and_or_b32 v0, v9, s6, v8
	v_cmp_ne_u32_e32 vcc, 0, v0
	v_cndmask_b32_e64 v0, 0, 1, vcc
	v_lshrrev_b32_e32 v1, 8, v9
	v_bfe_u32 v4, v9, 20, 11
	v_and_or_b32 v0, v1, s7, v0
	v_sub_u32_e32 v8, 0x3f1, v4
	v_or_b32_e32 v1, 0x1000, v0
	v_med3_i32 v8, v8, 0, 13
	v_lshrrev_b32_e32 v10, v8, v1
	v_lshlrev_b32_e32 v8, v8, v10
	v_cmp_ne_u32_e32 vcc, v8, v1
	v_cndmask_b32_e64 v1, 0, 1, vcc
	v_add_u32_e32 v4, 0xfffffc10, v4
	v_or_b32_e32 v1, v10, v1
	v_lshl_or_b32 v8, v4, 12, v0
	v_cmp_gt_i32_e32 vcc, 1, v4
	v_cndmask_b32_e32 v1, v8, v1, vcc
	v_and_b32_e32 v8, 7, v1
	v_cmp_lt_i32_e32 vcc, 5, v8
	v_cmp_eq_u32_e64 s[0:1], 3, v8
	v_lshrrev_b32_e32 v1, 2, v1
	s_or_b64 vcc, s[0:1], vcc
	v_addc_co_u32_e32 v1, vcc, 0, v1, vcc
	v_cmp_gt_i32_e32 vcc, 31, v4
	v_cndmask_b32_e32 v1, v2, v1, vcc
	v_cmp_ne_u32_e32 vcc, 0, v0
	v_cndmask_b32_e64 v0, 0, 1, vcc
	v_lshl_or_b32 v0, v0, 9, v2
	v_cmp_eq_u32_e32 vcc, s10, v4
	v_mad_u64_u32 v[10:11], s[0:1], s8, v40, 0
	v_cndmask_b32_e32 v15, v1, v0, vcc
	ds_read2_b32 v[0:1], v12 offset0:74 offset1:239
	v_mov_b32_e32 v4, v11
	v_lshrrev_b32_e32 v12, 16, v9
	v_mad_u64_u32 v[8:9], s[0:1], s9, v40, v[4:5]
	s_waitcnt lgkmcnt(0)
	v_lshrrev_b32_e32 v4, 16, v1
	v_mul_f16_sdwa v9, v39, v4 dst_sel:DWORD dst_unused:UNUSED_PAD src0_sel:WORD_1 src1_sel:DWORD
	v_fma_f16 v9, v39, v1, v9
	v_cvt_f32_f16_e32 v9, v9
	v_mov_b32_e32 v11, v8
	v_and_or_b32 v12, v12, s11, v15
	v_and_b32_e32 v14, 0xffff, v14
	v_cvt_f64_f32_e32 v[8:9], v9
	v_lshl_or_b32 v12, v12, 16, v14
	v_mov_b32_e32 v14, s5
	v_add_co_u32_e32 v15, vcc, s4, v6
	v_mul_f64 v[8:9], v[8:9], s[2:3]
	v_addc_co_u32_e32 v14, vcc, v14, v7, vcc
	v_lshlrev_b64 v[6:7], 2, v[10:11]
	v_mul_f16_sdwa v1, v39, v1 dst_sel:DWORD dst_unused:UNUSED_PAD src0_sel:WORD_1 src1_sel:DWORD
	v_add_co_u32_e32 v6, vcc, v15, v6
	v_addc_co_u32_e32 v7, vcc, v14, v7, vcc
	v_and_or_b32 v8, v9, s6, v8
	v_cmp_ne_u32_e32 vcc, 0, v8
	v_cndmask_b32_e64 v8, 0, 1, vcc
	v_lshrrev_b32_e32 v10, 8, v9
	v_bfe_u32 v11, v9, 20, 11
	global_store_dword v[6:7], v12, off
	v_and_or_b32 v8, v10, s7, v8
	v_sub_u32_e32 v12, 0x3f1, v11
	v_or_b32_e32 v10, 0x1000, v8
	v_med3_i32 v12, v12, 0, 13
	v_lshrrev_b32_e32 v14, v12, v10
	v_lshlrev_b32_e32 v12, v12, v14
	v_cmp_ne_u32_e32 vcc, v12, v10
	v_fma_f16 v1, v39, v4, -v1
	v_cndmask_b32_e64 v10, 0, 1, vcc
	v_add_u32_e32 v12, 0xfffffc10, v11
	v_cvt_f32_f16_e32 v1, v1
	v_or_b32_e32 v10, v14, v10
	v_lshl_or_b32 v11, v12, 12, v8
	v_cmp_gt_i32_e32 vcc, 1, v12
	v_cndmask_b32_e32 v10, v11, v10, vcc
	v_and_b32_e32 v11, 7, v10
	v_cmp_lt_i32_e32 vcc, 5, v11
	v_cmp_eq_u32_e64 s[0:1], 3, v11
	v_lshrrev_b32_e32 v4, 2, v10
	v_cvt_f64_f32_e32 v[10:11], v1
	s_or_b64 vcc, s[0:1], vcc
	v_addc_co_u32_e32 v1, vcc, 0, v4, vcc
	v_mul_f64 v[10:11], v[10:11], s[2:3]
	v_cmp_gt_i32_e32 vcc, 31, v12
	v_cndmask_b32_e32 v1, v2, v1, vcc
	v_cmp_ne_u32_e32 vcc, 0, v8
	v_cndmask_b32_e64 v4, 0, 1, vcc
	v_lshl_or_b32 v4, v4, 9, v2
	v_cmp_eq_u32_e32 vcc, s10, v12
	v_cndmask_b32_e32 v1, v1, v4, vcc
	v_lshrrev_b32_e32 v4, 16, v9
	v_and_or_b32 v1, v4, s11, v1
	v_and_or_b32 v4, v11, s6, v10
	v_cmp_ne_u32_e32 vcc, 0, v4
	v_cndmask_b32_e64 v4, 0, 1, vcc
	v_lshrrev_b32_e32 v8, 8, v11
	v_bfe_u32 v9, v11, 20, 11
	v_and_or_b32 v4, v8, s7, v4
	v_sub_u32_e32 v10, 0x3f1, v9
	v_or_b32_e32 v8, 0x1000, v4
	v_med3_i32 v10, v10, 0, 13
	v_lshrrev_b32_e32 v12, v10, v8
	v_lshlrev_b32_e32 v10, v10, v12
	v_cmp_ne_u32_e32 vcc, v10, v8
	v_cndmask_b32_e64 v8, 0, 1, vcc
	v_add_u32_e32 v10, 0xfffffc10, v9
	v_or_b32_e32 v8, v12, v8
	v_lshl_or_b32 v9, v10, 12, v4
	v_cmp_gt_i32_e32 vcc, 1, v10
	v_cndmask_b32_e32 v8, v9, v8, vcc
	v_and_b32_e32 v9, 7, v8
	v_cmp_lt_i32_e32 vcc, 5, v9
	v_cmp_eq_u32_e64 s[0:1], 3, v9
	v_lshrrev_b32_e32 v8, 2, v8
	s_or_b64 vcc, s[0:1], vcc
	v_addc_co_u32_e32 v8, vcc, 0, v8, vcc
	v_cmp_gt_i32_e32 vcc, 31, v10
	v_cndmask_b32_e32 v12, v2, v8, vcc
	ds_read2_b32 v[8:9], v13 offset0:30 offset1:195
	v_cmp_ne_u32_e32 vcc, 0, v4
	v_cndmask_b32_e64 v4, 0, 1, vcc
	v_lshl_or_b32 v4, v4, 9, v2
	v_cmp_eq_u32_e32 vcc, s10, v10
	v_cndmask_b32_e32 v4, v12, v4, vcc
	s_waitcnt lgkmcnt(0)
	v_lshrrev_b32_e32 v12, 16, v8
	v_lshrrev_b32_e32 v10, 16, v11
	v_mul_f16_sdwa v11, v38, v12 dst_sel:DWORD dst_unused:UNUSED_PAD src0_sel:WORD_1 src1_sel:DWORD
	v_fma_f16 v11, v38, v8, v11
	v_cvt_f32_f16_e32 v11, v11
	v_and_or_b32 v4, v10, s11, v4
	s_mul_i32 s0, s9, 0x7bc
	s_mul_hi_u32 s4, s8, 0x7bc
	v_cvt_f64_f32_e32 v[10:11], v11
	v_and_b32_e32 v1, 0xffff, v1
	s_add_i32 s4, s4, s0
	s_mul_i32 s5, s8, 0x7bc
	v_mul_f64 v[10:11], v[10:11], s[2:3]
	v_lshl_or_b32 v1, v4, 16, v1
	v_mov_b32_e32 v4, s4
	v_add_co_u32_e32 v6, vcc, s5, v6
	v_addc_co_u32_e32 v7, vcc, v7, v4, vcc
	global_store_dword v[6:7], v1, off
	v_and_or_b32 v1, v11, s6, v10
	v_cmp_ne_u32_e32 vcc, 0, v1
	v_cndmask_b32_e64 v1, 0, 1, vcc
	v_lshrrev_b32_e32 v4, 8, v11
	v_bfe_u32 v10, v11, 20, 11
	v_and_or_b32 v1, v4, s7, v1
	v_sub_u32_e32 v13, 0x3f1, v10
	v_or_b32_e32 v4, 0x1000, v1
	v_med3_i32 v13, v13, 0, 13
	v_lshrrev_b32_e32 v14, v13, v4
	v_lshlrev_b32_e32 v13, v13, v14
	v_mul_f16_sdwa v8, v38, v8 dst_sel:DWORD dst_unused:UNUSED_PAD src0_sel:WORD_1 src1_sel:DWORD
	v_cmp_ne_u32_e32 vcc, v13, v4
	v_fma_f16 v8, v38, v12, -v8
	v_cndmask_b32_e64 v4, 0, 1, vcc
	v_add_u32_e32 v10, 0xfffffc10, v10
	v_cvt_f32_f16_e32 v8, v8
	v_or_b32_e32 v4, v14, v4
	v_lshl_or_b32 v13, v10, 12, v1
	v_cmp_gt_i32_e32 vcc, 1, v10
	v_cndmask_b32_e32 v4, v13, v4, vcc
	v_and_b32_e32 v13, 7, v4
	v_cmp_lt_i32_e32 vcc, 5, v13
	v_cmp_eq_u32_e64 s[0:1], 3, v13
	v_cvt_f64_f32_e32 v[12:13], v8
	v_lshrrev_b32_e32 v4, 2, v4
	s_or_b64 vcc, s[0:1], vcc
	v_addc_co_u32_e32 v4, vcc, 0, v4, vcc
	v_mul_f64 v[12:13], v[12:13], s[2:3]
	v_cmp_gt_i32_e32 vcc, 31, v10
	v_cndmask_b32_e32 v4, v2, v4, vcc
	v_cmp_ne_u32_e32 vcc, 0, v1
	v_cndmask_b32_e64 v1, 0, 1, vcc
	v_lshl_or_b32 v1, v1, 9, v2
	v_cmp_eq_u32_e32 vcc, s10, v10
	v_cndmask_b32_e32 v1, v4, v1, vcc
	v_lshrrev_b32_e32 v4, 16, v11
	v_and_or_b32 v1, v4, s11, v1
	v_and_or_b32 v4, v13, s6, v12
	v_cmp_ne_u32_e32 vcc, 0, v4
	v_cndmask_b32_e64 v4, 0, 1, vcc
	v_lshrrev_b32_e32 v8, 8, v13
	v_bfe_u32 v10, v13, 20, 11
	v_and_or_b32 v4, v8, s7, v4
	v_sub_u32_e32 v11, 0x3f1, v10
	v_or_b32_e32 v8, 0x1000, v4
	v_med3_i32 v11, v11, 0, 13
	v_lshrrev_b32_e32 v12, v11, v8
	v_lshlrev_b32_e32 v11, v11, v12
	v_cmp_ne_u32_e32 vcc, v11, v8
	v_cndmask_b32_e64 v8, 0, 1, vcc
	v_add_u32_e32 v10, 0xfffffc10, v10
	v_or_b32_e32 v8, v12, v8
	v_lshl_or_b32 v11, v10, 12, v4
	v_cmp_gt_i32_e32 vcc, 1, v10
	v_cndmask_b32_e32 v8, v11, v8, vcc
	v_and_b32_e32 v11, 7, v8
	v_lshrrev_b32_e32 v12, 16, v5
	v_cmp_lt_i32_e32 vcc, 5, v11
	v_cmp_eq_u32_e64 s[0:1], 3, v11
	v_mul_f16_sdwa v11, v37, v12 dst_sel:DWORD dst_unused:UNUSED_PAD src0_sel:WORD_1 src1_sel:DWORD
	v_fma_f16 v11, v37, v5, v11
	v_lshrrev_b32_e32 v8, 2, v8
	s_or_b64 vcc, s[0:1], vcc
	v_cvt_f32_f16_e32 v11, v11
	v_addc_co_u32_e32 v8, vcc, 0, v8, vcc
	v_cmp_gt_i32_e32 vcc, 31, v10
	v_cndmask_b32_e32 v8, v2, v8, vcc
	v_cmp_ne_u32_e32 vcc, 0, v4
	v_cndmask_b32_e64 v4, 0, 1, vcc
	v_cmp_eq_u32_e32 vcc, s10, v10
	v_cvt_f64_f32_e32 v[10:11], v11
	v_lshl_or_b32 v4, v4, 9, v2
	v_cndmask_b32_e32 v4, v8, v4, vcc
	v_lshrrev_b32_e32 v8, 16, v13
	v_mul_f64 v[10:11], v[10:11], s[2:3]
	v_and_or_b32 v4, v8, s11, v4
	v_and_b32_e32 v1, 0xffff, v1
	v_lshl_or_b32 v1, v4, 16, v1
	v_mov_b32_e32 v4, s4
	v_add_co_u32_e32 v6, vcc, s5, v6
	v_addc_co_u32_e32 v7, vcc, v7, v4, vcc
	global_store_dword v[6:7], v1, off
	v_and_or_b32 v1, v11, s6, v10
	v_cmp_ne_u32_e32 vcc, 0, v1
	v_cndmask_b32_e64 v1, 0, 1, vcc
	v_lshrrev_b32_e32 v4, 8, v11
	v_bfe_u32 v8, v11, 20, 11
	v_and_or_b32 v1, v4, s7, v1
	v_sub_u32_e32 v10, 0x3f1, v8
	v_or_b32_e32 v4, 0x1000, v1
	v_med3_i32 v10, v10, 0, 13
	v_lshrrev_b32_e32 v13, v10, v4
	v_lshlrev_b32_e32 v10, v10, v13
	v_mul_f16_sdwa v5, v37, v5 dst_sel:DWORD dst_unused:UNUSED_PAD src0_sel:WORD_1 src1_sel:DWORD
	v_cmp_ne_u32_e32 vcc, v10, v4
	v_fma_f16 v5, v37, v12, -v5
	v_cndmask_b32_e64 v4, 0, 1, vcc
	v_add_u32_e32 v8, 0xfffffc10, v8
	v_cvt_f32_f16_e32 v5, v5
	v_or_b32_e32 v4, v13, v4
	v_lshl_or_b32 v10, v8, 12, v1
	v_cmp_gt_i32_e32 vcc, 1, v8
	v_cndmask_b32_e32 v4, v10, v4, vcc
	v_and_b32_e32 v10, 7, v4
	v_cmp_lt_i32_e32 vcc, 5, v10
	v_cmp_eq_u32_e64 s[0:1], 3, v10
	v_lshrrev_b32_e32 v10, 2, v4
	v_cvt_f64_f32_e32 v[4:5], v5
	s_or_b64 vcc, s[0:1], vcc
	v_addc_co_u32_e32 v10, vcc, 0, v10, vcc
	v_mul_f64 v[4:5], v[4:5], s[2:3]
	v_cmp_gt_i32_e32 vcc, 31, v8
	v_cndmask_b32_e32 v10, v2, v10, vcc
	v_cmp_ne_u32_e32 vcc, 0, v1
	v_cndmask_b32_e64 v1, 0, 1, vcc
	v_lshl_or_b32 v1, v1, 9, v2
	v_cmp_eq_u32_e32 vcc, s10, v8
	v_cndmask_b32_e32 v1, v10, v1, vcc
	v_and_or_b32 v4, v5, s6, v4
	v_lshrrev_b32_e32 v8, 16, v11
	v_cmp_ne_u32_e32 vcc, 0, v4
	v_and_or_b32 v1, v8, s11, v1
	v_cndmask_b32_e64 v4, 0, 1, vcc
	v_lshrrev_b32_e32 v8, 8, v5
	v_bfe_u32 v10, v5, 20, 11
	v_and_or_b32 v8, v8, s7, v4
	v_sub_u32_e32 v11, 0x3f1, v10
	v_or_b32_e32 v4, 0x1000, v8
	v_med3_i32 v11, v11, 0, 13
	v_lshrrev_b32_e32 v12, v11, v4
	v_lshlrev_b32_e32 v11, v11, v12
	v_cmp_ne_u32_e32 vcc, v11, v4
	v_cndmask_b32_e64 v4, 0, 1, vcc
	v_add_u32_e32 v10, 0xfffffc10, v10
	v_or_b32_e32 v4, v12, v4
	v_lshl_or_b32 v11, v10, 12, v8
	v_cmp_gt_i32_e32 vcc, 1, v10
	v_cndmask_b32_e32 v4, v11, v4, vcc
	v_and_b32_e32 v11, 7, v4
	v_cmp_lt_i32_e32 vcc, 5, v11
	v_cmp_eq_u32_e64 s[0:1], 3, v11
	v_lshrrev_b32_e32 v4, 2, v4
	s_or_b64 vcc, s[0:1], vcc
	v_addc_co_u32_e32 v11, vcc, 0, v4, vcc
	ds_read2_b32 v[3:4], v3 offset0:20 offset1:185
	v_cmp_gt_i32_e32 vcc, 31, v10
	v_cndmask_b32_e32 v11, v2, v11, vcc
	v_cmp_ne_u32_e32 vcc, 0, v8
	v_cndmask_b32_e64 v8, 0, 1, vcc
	s_waitcnt lgkmcnt(0)
	v_lshrrev_b32_e32 v12, 16, v3
	v_mul_f16_sdwa v13, v36, v12 dst_sel:DWORD dst_unused:UNUSED_PAD src0_sel:WORD_1 src1_sel:DWORD
	v_fma_f16 v13, v36, v3, v13
	v_cvt_f32_f16_e32 v13, v13
	v_lshl_or_b32 v8, v8, 9, v2
	v_cmp_eq_u32_e32 vcc, s10, v10
	v_cndmask_b32_e32 v8, v11, v8, vcc
	v_cvt_f64_f32_e32 v[10:11], v13
	v_lshrrev_b32_e32 v5, 16, v5
	v_mov_b32_e32 v13, 0xfffff31c
	v_and_or_b32 v8, v5, s11, v8
	v_mul_f64 v[10:11], v[10:11], s[2:3]
	v_mad_u64_u32 v[5:6], s[0:1], s8, v13, v[6:7]
	s_mul_i32 s0, s9, 0xfffff31c
	v_and_b32_e32 v1, 0xffff, v1
	s_sub_i32 s9, s0, s8
	v_lshl_or_b32 v1, v8, 16, v1
	v_add_u32_e32 v6, s9, v6
	global_store_dword v[5:6], v1, off
	v_and_or_b32 v1, v11, s6, v10
	v_cmp_ne_u32_e32 vcc, 0, v1
	v_cndmask_b32_e64 v1, 0, 1, vcc
	v_lshrrev_b32_e32 v7, 8, v11
	v_bfe_u32 v8, v11, 20, 11
	v_and_or_b32 v1, v7, s7, v1
	v_sub_u32_e32 v10, 0x3f1, v8
	v_or_b32_e32 v7, 0x1000, v1
	v_med3_i32 v10, v10, 0, 13
	v_lshrrev_b32_e32 v14, v10, v7
	v_lshlrev_b32_e32 v10, v10, v14
	v_mul_f16_sdwa v3, v36, v3 dst_sel:DWORD dst_unused:UNUSED_PAD src0_sel:WORD_1 src1_sel:DWORD
	v_cmp_ne_u32_e32 vcc, v10, v7
	v_fma_f16 v3, v36, v12, -v3
	v_cndmask_b32_e64 v7, 0, 1, vcc
	v_add_u32_e32 v10, 0xfffffc10, v8
	v_cvt_f32_f16_e32 v3, v3
	v_or_b32_e32 v7, v14, v7
	v_lshl_or_b32 v8, v10, 12, v1
	v_cmp_gt_i32_e32 vcc, 1, v10
	v_cndmask_b32_e32 v7, v8, v7, vcc
	v_and_b32_e32 v8, 7, v7
	v_cmp_lt_i32_e32 vcc, 5, v8
	v_cmp_eq_u32_e64 s[0:1], 3, v8
	v_lshrrev_b32_e32 v12, 2, v7
	v_cvt_f64_f32_e32 v[7:8], v3
	s_or_b64 vcc, s[0:1], vcc
	v_addc_co_u32_e32 v3, vcc, 0, v12, vcc
	v_mul_f64 v[7:8], v[7:8], s[2:3]
	v_cmp_gt_i32_e32 vcc, 31, v10
	v_cndmask_b32_e32 v3, v2, v3, vcc
	v_cmp_ne_u32_e32 vcc, 0, v1
	v_cndmask_b32_e64 v1, 0, 1, vcc
	v_lshl_or_b32 v1, v1, 9, v2
	v_cmp_eq_u32_e32 vcc, s10, v10
	v_cndmask_b32_e32 v1, v3, v1, vcc
	v_lshrrev_b32_e32 v3, 16, v11
	v_and_or_b32 v1, v3, s11, v1
	v_and_or_b32 v3, v8, s6, v7
	v_cmp_ne_u32_e32 vcc, 0, v3
	v_cndmask_b32_e64 v3, 0, 1, vcc
	v_lshrrev_b32_e32 v7, 8, v8
	v_bfe_u32 v10, v8, 20, 11
	v_and_or_b32 v3, v7, s7, v3
	v_sub_u32_e32 v11, 0x3f1, v10
	v_or_b32_e32 v7, 0x1000, v3
	v_med3_i32 v11, v11, 0, 13
	v_lshrrev_b32_e32 v12, v11, v7
	v_lshlrev_b32_e32 v11, v11, v12
	v_cmp_ne_u32_e32 vcc, v11, v7
	v_cndmask_b32_e64 v7, 0, 1, vcc
	v_add_u32_e32 v10, 0xfffffc10, v10
	v_or_b32_e32 v7, v12, v7
	v_lshl_or_b32 v11, v10, 12, v3
	v_cmp_gt_i32_e32 vcc, 1, v10
	v_cndmask_b32_e32 v7, v11, v7, vcc
	v_and_b32_e32 v11, 7, v7
	v_lshrrev_b32_e32 v12, 16, v9
	v_cmp_lt_i32_e32 vcc, 5, v11
	v_cmp_eq_u32_e64 s[0:1], 3, v11
	v_mul_f16_sdwa v11, v35, v12 dst_sel:DWORD dst_unused:UNUSED_PAD src0_sel:WORD_1 src1_sel:DWORD
	v_fma_f16 v11, v35, v9, v11
	v_lshrrev_b32_e32 v7, 2, v7
	s_or_b64 vcc, s[0:1], vcc
	v_cvt_f32_f16_e32 v11, v11
	v_addc_co_u32_e32 v7, vcc, 0, v7, vcc
	v_cmp_gt_i32_e32 vcc, 31, v10
	v_cndmask_b32_e32 v7, v2, v7, vcc
	v_cmp_ne_u32_e32 vcc, 0, v3
	v_cndmask_b32_e64 v3, 0, 1, vcc
	v_cmp_eq_u32_e32 vcc, s10, v10
	v_cvt_f64_f32_e32 v[10:11], v11
	v_lshl_or_b32 v3, v3, 9, v2
	v_cndmask_b32_e32 v3, v7, v3, vcc
	v_lshrrev_b32_e32 v7, 16, v8
	v_and_or_b32 v3, v7, s11, v3
	v_mul_f64 v[7:8], v[10:11], s[2:3]
	v_and_b32_e32 v1, 0xffff, v1
	v_lshl_or_b32 v1, v3, 16, v1
	v_mov_b32_e32 v3, s4
	v_add_co_u32_e32 v5, vcc, s5, v5
	v_addc_co_u32_e32 v6, vcc, v6, v3, vcc
	global_store_dword v[5:6], v1, off
	v_and_or_b32 v1, v8, s6, v7
	v_cmp_ne_u32_e32 vcc, 0, v1
	v_cndmask_b32_e64 v1, 0, 1, vcc
	v_lshrrev_b32_e32 v3, 8, v8
	v_bfe_u32 v7, v8, 20, 11
	v_and_or_b32 v1, v3, s7, v1
	v_sub_u32_e32 v10, 0x3f1, v7
	v_or_b32_e32 v3, 0x1000, v1
	v_med3_i32 v10, v10, 0, 13
	v_lshrrev_b32_e32 v11, v10, v3
	v_lshlrev_b32_e32 v10, v10, v11
	v_mul_f16_sdwa v9, v35, v9 dst_sel:DWORD dst_unused:UNUSED_PAD src0_sel:WORD_1 src1_sel:DWORD
	v_cmp_ne_u32_e32 vcc, v10, v3
	v_fma_f16 v9, v35, v12, -v9
	v_cndmask_b32_e64 v3, 0, 1, vcc
	v_add_u32_e32 v7, 0xfffffc10, v7
	v_cvt_f32_f16_e32 v9, v9
	v_or_b32_e32 v3, v11, v3
	v_lshl_or_b32 v10, v7, 12, v1
	v_cmp_gt_i32_e32 vcc, 1, v7
	v_cndmask_b32_e32 v3, v10, v3, vcc
	v_and_b32_e32 v10, 7, v3
	v_cmp_lt_i32_e32 vcc, 5, v10
	v_cmp_eq_u32_e64 s[0:1], 3, v10
	v_cvt_f64_f32_e32 v[9:10], v9
	v_lshrrev_b32_e32 v3, 2, v3
	s_or_b64 vcc, s[0:1], vcc
	v_addc_co_u32_e32 v3, vcc, 0, v3, vcc
	v_mul_f64 v[9:10], v[9:10], s[2:3]
	v_cmp_gt_i32_e32 vcc, 31, v7
	v_cndmask_b32_e32 v3, v2, v3, vcc
	v_cmp_ne_u32_e32 vcc, 0, v1
	v_cndmask_b32_e64 v1, 0, 1, vcc
	v_lshl_or_b32 v1, v1, 9, v2
	v_cmp_eq_u32_e32 vcc, s10, v7
	v_cndmask_b32_e32 v1, v3, v1, vcc
	v_lshrrev_b32_e32 v3, 16, v8
	v_and_or_b32 v1, v3, s11, v1
	v_and_or_b32 v3, v10, s6, v9
	v_cmp_ne_u32_e32 vcc, 0, v3
	v_cndmask_b32_e64 v3, 0, 1, vcc
	v_lshrrev_b32_e32 v7, 8, v10
	v_bfe_u32 v8, v10, 20, 11
	v_and_or_b32 v3, v7, s7, v3
	v_sub_u32_e32 v9, 0x3f1, v8
	v_or_b32_e32 v7, 0x1000, v3
	v_med3_i32 v9, v9, 0, 13
	v_lshrrev_b32_e32 v11, v9, v7
	v_lshlrev_b32_e32 v9, v9, v11
	v_cmp_ne_u32_e32 vcc, v9, v7
	v_cndmask_b32_e64 v7, 0, 1, vcc
	v_add_u32_e32 v8, 0xfffffc10, v8
	v_or_b32_e32 v7, v11, v7
	v_lshl_or_b32 v9, v8, 12, v3
	v_cmp_gt_i32_e32 vcc, 1, v8
	v_cndmask_b32_e32 v7, v9, v7, vcc
	v_and_b32_e32 v9, 7, v7
	v_cmp_lt_i32_e32 vcc, 5, v9
	v_cmp_eq_u32_e64 s[0:1], 3, v9
	v_lshrrev_b32_e32 v9, 16, v0
	v_lshrrev_b32_e32 v7, 2, v7
	s_or_b64 vcc, s[0:1], vcc
	v_mul_f16_sdwa v11, v34, v9 dst_sel:DWORD dst_unused:UNUSED_PAD src0_sel:WORD_1 src1_sel:DWORD
	v_addc_co_u32_e32 v7, vcc, 0, v7, vcc
	v_fma_f16 v11, v34, v0, v11
	v_cmp_gt_i32_e32 vcc, 31, v8
	v_cvt_f32_f16_e32 v11, v11
	v_cndmask_b32_e32 v7, v2, v7, vcc
	v_cmp_ne_u32_e32 vcc, 0, v3
	v_cndmask_b32_e64 v3, 0, 1, vcc
	v_lshl_or_b32 v3, v3, 9, v2
	v_cmp_eq_u32_e32 vcc, s10, v8
	v_cndmask_b32_e32 v3, v7, v3, vcc
	v_cvt_f64_f32_e32 v[7:8], v11
	v_lshrrev_b32_e32 v10, 16, v10
	v_and_or_b32 v3, v10, s11, v3
	v_and_b32_e32 v1, 0xffff, v1
	v_mul_f64 v[7:8], v[7:8], s[2:3]
	v_lshl_or_b32 v1, v3, 16, v1
	v_mov_b32_e32 v3, s4
	v_add_co_u32_e32 v5, vcc, s5, v5
	v_addc_co_u32_e32 v6, vcc, v6, v3, vcc
	global_store_dword v[5:6], v1, off
	v_and_or_b32 v1, v8, s6, v7
	v_cmp_ne_u32_e32 vcc, 0, v1
	v_cndmask_b32_e64 v1, 0, 1, vcc
	v_lshrrev_b32_e32 v3, 8, v8
	v_bfe_u32 v7, v8, 20, 11
	v_and_or_b32 v3, v3, s7, v1
	v_sub_u32_e32 v10, 0x3f1, v7
	v_or_b32_e32 v1, 0x1000, v3
	v_med3_i32 v10, v10, 0, 13
	v_lshrrev_b32_e32 v11, v10, v1
	v_mul_f16_sdwa v0, v34, v0 dst_sel:DWORD dst_unused:UNUSED_PAD src0_sel:WORD_1 src1_sel:DWORD
	v_lshlrev_b32_e32 v10, v10, v11
	v_fma_f16 v0, v34, v9, -v0
	v_cmp_ne_u32_e32 vcc, v10, v1
	v_cvt_f32_f16_e32 v0, v0
	v_cndmask_b32_e64 v1, 0, 1, vcc
	v_add_u32_e32 v7, 0xfffffc10, v7
	v_or_b32_e32 v1, v11, v1
	v_lshl_or_b32 v10, v7, 12, v3
	v_cmp_gt_i32_e32 vcc, 1, v7
	v_cndmask_b32_e32 v1, v10, v1, vcc
	v_and_b32_e32 v10, 7, v1
	v_lshrrev_b32_e32 v9, 2, v1
	v_cvt_f64_f32_e32 v[0:1], v0
	v_cmp_lt_i32_e32 vcc, 5, v10
	v_cmp_eq_u32_e64 s[0:1], 3, v10
	s_or_b64 vcc, s[0:1], vcc
	v_mul_f64 v[0:1], v[0:1], s[2:3]
	v_addc_co_u32_e32 v9, vcc, 0, v9, vcc
	v_cmp_gt_i32_e32 vcc, 31, v7
	v_cndmask_b32_e32 v9, v2, v9, vcc
	v_cmp_ne_u32_e32 vcc, 0, v3
	v_cndmask_b32_e64 v3, 0, 1, vcc
	v_lshl_or_b32 v3, v3, 9, v2
	v_cmp_eq_u32_e32 vcc, s10, v7
	v_and_or_b32 v0, v1, s6, v0
	v_cndmask_b32_e32 v3, v9, v3, vcc
	v_lshrrev_b32_e32 v7, 16, v8
	v_cmp_ne_u32_e32 vcc, 0, v0
	v_and_or_b32 v3, v7, s11, v3
	v_cndmask_b32_e64 v0, 0, 1, vcc
	v_lshrrev_b32_e32 v7, 8, v1
	v_bfe_u32 v8, v1, 20, 11
	v_and_or_b32 v0, v7, s7, v0
	v_sub_u32_e32 v9, 0x3f1, v8
	v_or_b32_e32 v7, 0x1000, v0
	v_med3_i32 v9, v9, 0, 13
	v_lshrrev_b32_e32 v10, v9, v7
	v_lshlrev_b32_e32 v9, v9, v10
	v_cmp_ne_u32_e32 vcc, v9, v7
	v_cndmask_b32_e64 v7, 0, 1, vcc
	v_add_u32_e32 v9, 0xfffffc10, v8
	v_or_b32_e32 v7, v10, v7
	v_lshl_or_b32 v8, v9, 12, v0
	v_cmp_gt_i32_e32 vcc, 1, v9
	v_cndmask_b32_e32 v7, v8, v7, vcc
	v_and_b32_e32 v8, 7, v7
	v_cmp_lt_i32_e32 vcc, 5, v8
	v_cmp_eq_u32_e64 s[0:1], 3, v8
	v_lshrrev_b32_e32 v7, 2, v7
	s_or_b64 vcc, s[0:1], vcc
	v_addc_co_u32_e32 v7, vcc, 0, v7, vcc
	v_cmp_gt_i32_e32 vcc, 31, v9
	v_lshrrev_b32_e32 v11, 16, v4
	v_cndmask_b32_e32 v10, v2, v7, vcc
	v_mul_f16_sdwa v7, v33, v11 dst_sel:DWORD dst_unused:UNUSED_PAD src0_sel:WORD_1 src1_sel:DWORD
	v_fma_f16 v7, v33, v4, v7
	v_cvt_f32_f16_e32 v7, v7
	v_cmp_ne_u32_e32 vcc, 0, v0
	v_cndmask_b32_e64 v0, 0, 1, vcc
	v_lshl_or_b32 v0, v0, 9, v2
	v_cvt_f64_f32_e32 v[7:8], v7
	v_cmp_eq_u32_e32 vcc, s10, v9
	v_cndmask_b32_e32 v9, v10, v0, vcc
	v_lshrrev_b32_e32 v10, 16, v1
	v_mul_f64 v[0:1], v[7:8], s[2:3]
	v_mad_u64_u32 v[5:6], s[0:1], s8, v13, v[5:6]
	v_and_or_b32 v7, v10, s11, v9
	v_and_b32_e32 v3, 0xffff, v3
	v_lshl_or_b32 v3, v7, 16, v3
	v_add_u32_e32 v6, s9, v6
	global_store_dword v[5:6], v3, off
	v_and_or_b32 v0, v1, s6, v0
	v_cmp_ne_u32_e32 vcc, 0, v0
	v_cndmask_b32_e64 v0, 0, 1, vcc
	v_lshrrev_b32_e32 v3, 8, v1
	v_bfe_u32 v7, v1, 20, 11
	v_and_or_b32 v0, v3, s7, v0
	v_sub_u32_e32 v8, 0x3f1, v7
	v_or_b32_e32 v3, 0x1000, v0
	v_med3_i32 v8, v8, 0, 13
	v_lshrrev_b32_e32 v9, v8, v3
	v_lshlrev_b32_e32 v8, v8, v9
	v_mul_f16_sdwa v4, v33, v4 dst_sel:DWORD dst_unused:UNUSED_PAD src0_sel:WORD_1 src1_sel:DWORD
	v_cmp_ne_u32_e32 vcc, v8, v3
	v_fma_f16 v4, v33, v11, -v4
	v_cndmask_b32_e64 v3, 0, 1, vcc
	v_add_u32_e32 v7, 0xfffffc10, v7
	v_cvt_f32_f16_e32 v4, v4
	v_or_b32_e32 v3, v9, v3
	v_lshl_or_b32 v8, v7, 12, v0
	v_cmp_gt_i32_e32 vcc, 1, v7
	v_cndmask_b32_e32 v3, v8, v3, vcc
	v_and_b32_e32 v8, 7, v3
	v_cmp_lt_i32_e32 vcc, 5, v8
	v_cmp_eq_u32_e64 s[0:1], 3, v8
	v_lshrrev_b32_e32 v8, 2, v3
	v_cvt_f64_f32_e32 v[3:4], v4
	s_or_b64 vcc, s[0:1], vcc
	v_addc_co_u32_e32 v8, vcc, 0, v8, vcc
	v_mul_f64 v[3:4], v[3:4], s[2:3]
	v_cmp_gt_i32_e32 vcc, 31, v7
	v_cndmask_b32_e32 v8, v2, v8, vcc
	v_cmp_ne_u32_e32 vcc, 0, v0
	v_cndmask_b32_e64 v0, 0, 1, vcc
	v_lshl_or_b32 v0, v0, 9, v2
	v_cmp_eq_u32_e32 vcc, s10, v7
	v_cndmask_b32_e32 v0, v8, v0, vcc
	v_lshrrev_b32_e32 v1, 16, v1
	v_and_or_b32 v7, v1, s11, v0
	v_and_or_b32 v0, v4, s6, v3
	v_cmp_ne_u32_e32 vcc, 0, v0
	v_cndmask_b32_e64 v0, 0, 1, vcc
	v_lshrrev_b32_e32 v1, 8, v4
	v_bfe_u32 v3, v4, 20, 11
	v_and_or_b32 v0, v1, s7, v0
	v_sub_u32_e32 v8, 0x3f1, v3
	v_or_b32_e32 v1, 0x1000, v0
	v_med3_i32 v8, v8, 0, 13
	v_lshrrev_b32_e32 v9, v8, v1
	v_lshlrev_b32_e32 v8, v8, v9
	v_cmp_ne_u32_e32 vcc, v8, v1
	v_cndmask_b32_e64 v1, 0, 1, vcc
	v_add_u32_e32 v3, 0xfffffc10, v3
	v_or_b32_e32 v1, v9, v1
	v_lshl_or_b32 v8, v3, 12, v0
	v_cmp_gt_i32_e32 vcc, 1, v3
	v_cndmask_b32_e32 v1, v8, v1, vcc
	v_and_b32_e32 v8, 7, v1
	v_cmp_lt_i32_e32 vcc, 5, v8
	v_cmp_eq_u32_e64 s[0:1], 3, v8
	ds_read_b32 v8, v31 offset:5280
	v_lshrrev_b32_e32 v1, 2, v1
	s_or_b64 vcc, s[0:1], vcc
	v_addc_co_u32_e32 v1, vcc, 0, v1, vcc
	s_waitcnt lgkmcnt(0)
	v_lshrrev_b32_e32 v9, 16, v8
	v_mul_f16_sdwa v10, v32, v9 dst_sel:DWORD dst_unused:UNUSED_PAD src0_sel:WORD_1 src1_sel:DWORD
	v_fma_f16 v10, v32, v8, v10
	v_cmp_gt_i32_e32 vcc, 31, v3
	v_cvt_f32_f16_e32 v10, v10
	v_cndmask_b32_e32 v1, v2, v1, vcc
	v_cmp_ne_u32_e32 vcc, 0, v0
	v_cndmask_b32_e64 v0, 0, 1, vcc
	v_lshl_or_b32 v0, v0, 9, v2
	v_cmp_eq_u32_e32 vcc, s10, v3
	v_cndmask_b32_e32 v3, v1, v0, vcc
	v_cvt_f64_f32_e32 v[0:1], v10
	v_lshrrev_b32_e32 v4, 16, v4
	v_and_or_b32 v3, v4, s11, v3
	v_and_b32_e32 v4, 0xffff, v7
	v_mul_f64 v[0:1], v[0:1], s[2:3]
	v_lshl_or_b32 v7, v3, 16, v4
	v_mov_b32_e32 v4, s4
	v_add_co_u32_e32 v3, vcc, s5, v5
	v_addc_co_u32_e32 v4, vcc, v6, v4, vcc
	global_store_dword v[3:4], v7, off
	v_and_or_b32 v0, v1, s6, v0
	v_cmp_ne_u32_e32 vcc, 0, v0
	v_cndmask_b32_e64 v0, 0, 1, vcc
	v_lshrrev_b32_e32 v5, 8, v1
	v_bfe_u32 v6, v1, 20, 11
	v_and_or_b32 v0, v5, s7, v0
	v_sub_u32_e32 v7, 0x3f1, v6
	v_or_b32_e32 v5, 0x1000, v0
	v_med3_i32 v7, v7, 0, 13
	v_lshrrev_b32_e32 v10, v7, v5
	v_lshlrev_b32_e32 v7, v7, v10
	v_mul_f16_sdwa v8, v32, v8 dst_sel:DWORD dst_unused:UNUSED_PAD src0_sel:WORD_1 src1_sel:DWORD
	v_cmp_ne_u32_e32 vcc, v7, v5
	v_fma_f16 v8, v32, v9, -v8
	v_cndmask_b32_e64 v5, 0, 1, vcc
	v_add_u32_e32 v7, 0xfffffc10, v6
	v_cvt_f32_f16_e32 v8, v8
	v_or_b32_e32 v5, v10, v5
	v_lshl_or_b32 v6, v7, 12, v0
	v_cmp_gt_i32_e32 vcc, 1, v7
	v_cndmask_b32_e32 v5, v6, v5, vcc
	v_and_b32_e32 v6, 7, v5
	v_cmp_lt_i32_e32 vcc, 5, v6
	v_cmp_eq_u32_e64 s[0:1], 3, v6
	v_lshrrev_b32_e32 v9, 2, v5
	v_cvt_f64_f32_e32 v[5:6], v8
	s_or_b64 vcc, s[0:1], vcc
	v_addc_co_u32_e32 v8, vcc, 0, v9, vcc
	v_mul_f64 v[5:6], v[5:6], s[2:3]
	v_cmp_gt_i32_e32 vcc, 31, v7
	v_cndmask_b32_e32 v8, v2, v8, vcc
	v_cmp_ne_u32_e32 vcc, 0, v0
	v_cndmask_b32_e64 v0, 0, 1, vcc
	v_lshl_or_b32 v0, v0, 9, v2
	v_cmp_eq_u32_e32 vcc, s10, v7
	v_cndmask_b32_e32 v0, v8, v0, vcc
	v_lshrrev_b32_e32 v1, 16, v1
	v_and_or_b32 v0, v1, s11, v0
	v_and_or_b32 v1, v6, s6, v5
	v_cmp_ne_u32_e32 vcc, 0, v1
	v_cndmask_b32_e64 v1, 0, 1, vcc
	v_lshrrev_b32_e32 v5, 8, v6
	v_bfe_u32 v7, v6, 20, 11
	v_and_or_b32 v1, v5, s7, v1
	v_sub_u32_e32 v8, 0x3f1, v7
	v_or_b32_e32 v5, 0x1000, v1
	v_med3_i32 v8, v8, 0, 13
	v_lshrrev_b32_e32 v9, v8, v5
	v_lshlrev_b32_e32 v8, v8, v9
	v_cmp_ne_u32_e32 vcc, v8, v5
	v_cndmask_b32_e64 v5, 0, 1, vcc
	v_add_u32_e32 v7, 0xfffffc10, v7
	v_or_b32_e32 v5, v9, v5
	v_lshl_or_b32 v8, v7, 12, v1
	v_cmp_gt_i32_e32 vcc, 1, v7
	v_cndmask_b32_e32 v5, v8, v5, vcc
	v_and_b32_e32 v8, 7, v5
	v_cmp_lt_i32_e32 vcc, 5, v8
	v_cmp_eq_u32_e64 s[0:1], 3, v8
	v_lshrrev_b32_e32 v5, 2, v5
	s_or_b64 vcc, s[0:1], vcc
	v_addc_co_u32_e32 v5, vcc, 0, v5, vcc
	v_cmp_gt_i32_e32 vcc, 31, v7
	v_cndmask_b32_e32 v5, v2, v5, vcc
	v_cmp_ne_u32_e32 vcc, 0, v1
	v_cndmask_b32_e64 v1, 0, 1, vcc
	v_lshl_or_b32 v1, v1, 9, v2
	v_cmp_eq_u32_e32 vcc, s10, v7
	v_cndmask_b32_e32 v1, v5, v1, vcc
	v_lshrrev_b32_e32 v2, 16, v6
	v_and_or_b32 v1, v2, s11, v1
	v_and_b32_e32 v0, 0xffff, v0
	v_lshl_or_b32 v2, v1, 16, v0
	v_mov_b32_e32 v1, s4
	v_add_co_u32_e32 v0, vcc, s5, v3
	v_addc_co_u32_e32 v1, vcc, v4, v1, vcc
	global_store_dword v[0:1], v2, off
.LBB0_18:
	s_endpgm
	.section	.rodata,"a",@progbits
	.p2align	6, 0x0
	.amdhsa_kernel bluestein_single_back_len1485_dim1_half_op_CI_CI
		.amdhsa_group_segment_fixed_size 5940
		.amdhsa_private_segment_fixed_size 0
		.amdhsa_kernarg_size 104
		.amdhsa_user_sgpr_count 6
		.amdhsa_user_sgpr_private_segment_buffer 1
		.amdhsa_user_sgpr_dispatch_ptr 0
		.amdhsa_user_sgpr_queue_ptr 0
		.amdhsa_user_sgpr_kernarg_segment_ptr 1
		.amdhsa_user_sgpr_dispatch_id 0
		.amdhsa_user_sgpr_flat_scratch_init 0
		.amdhsa_user_sgpr_private_segment_size 0
		.amdhsa_uses_dynamic_stack 0
		.amdhsa_system_sgpr_private_segment_wavefront_offset 0
		.amdhsa_system_sgpr_workgroup_id_x 1
		.amdhsa_system_sgpr_workgroup_id_y 0
		.amdhsa_system_sgpr_workgroup_id_z 0
		.amdhsa_system_sgpr_workgroup_info 0
		.amdhsa_system_vgpr_workitem_id 0
		.amdhsa_next_free_vgpr 153
		.amdhsa_next_free_sgpr 23
		.amdhsa_reserve_vcc 1
		.amdhsa_reserve_flat_scratch 0
		.amdhsa_float_round_mode_32 0
		.amdhsa_float_round_mode_16_64 0
		.amdhsa_float_denorm_mode_32 3
		.amdhsa_float_denorm_mode_16_64 3
		.amdhsa_dx10_clamp 1
		.amdhsa_ieee_mode 1
		.amdhsa_fp16_overflow 0
		.amdhsa_exception_fp_ieee_invalid_op 0
		.amdhsa_exception_fp_denorm_src 0
		.amdhsa_exception_fp_ieee_div_zero 0
		.amdhsa_exception_fp_ieee_overflow 0
		.amdhsa_exception_fp_ieee_underflow 0
		.amdhsa_exception_fp_ieee_inexact 0
		.amdhsa_exception_int_div_zero 0
	.end_amdhsa_kernel
	.text
.Lfunc_end0:
	.size	bluestein_single_back_len1485_dim1_half_op_CI_CI, .Lfunc_end0-bluestein_single_back_len1485_dim1_half_op_CI_CI
                                        ; -- End function
	.section	.AMDGPU.csdata,"",@progbits
; Kernel info:
; codeLenInByte = 17748
; NumSgprs: 27
; NumVgprs: 153
; ScratchSize: 0
; MemoryBound: 0
; FloatMode: 240
; IeeeMode: 1
; LDSByteSize: 5940 bytes/workgroup (compile time only)
; SGPRBlocks: 3
; VGPRBlocks: 38
; NumSGPRsForWavesPerEU: 27
; NumVGPRsForWavesPerEU: 153
; Occupancy: 1
; WaveLimiterHint : 1
; COMPUTE_PGM_RSRC2:SCRATCH_EN: 0
; COMPUTE_PGM_RSRC2:USER_SGPR: 6
; COMPUTE_PGM_RSRC2:TRAP_HANDLER: 0
; COMPUTE_PGM_RSRC2:TGID_X_EN: 1
; COMPUTE_PGM_RSRC2:TGID_Y_EN: 0
; COMPUTE_PGM_RSRC2:TGID_Z_EN: 0
; COMPUTE_PGM_RSRC2:TIDIG_COMP_CNT: 0
	.type	__hip_cuid_2405681645103fa7,@object ; @__hip_cuid_2405681645103fa7
	.section	.bss,"aw",@nobits
	.globl	__hip_cuid_2405681645103fa7
__hip_cuid_2405681645103fa7:
	.byte	0                               ; 0x0
	.size	__hip_cuid_2405681645103fa7, 1

	.ident	"AMD clang version 19.0.0git (https://github.com/RadeonOpenCompute/llvm-project roc-6.4.0 25133 c7fe45cf4b819c5991fe208aaa96edf142730f1d)"
	.section	".note.GNU-stack","",@progbits
	.addrsig
	.addrsig_sym __hip_cuid_2405681645103fa7
	.amdgpu_metadata
---
amdhsa.kernels:
  - .args:
      - .actual_access:  read_only
        .address_space:  global
        .offset:         0
        .size:           8
        .value_kind:     global_buffer
      - .actual_access:  read_only
        .address_space:  global
        .offset:         8
        .size:           8
        .value_kind:     global_buffer
      - .actual_access:  read_only
        .address_space:  global
        .offset:         16
        .size:           8
        .value_kind:     global_buffer
      - .actual_access:  read_only
        .address_space:  global
        .offset:         24
        .size:           8
        .value_kind:     global_buffer
      - .actual_access:  read_only
        .address_space:  global
        .offset:         32
        .size:           8
        .value_kind:     global_buffer
      - .offset:         40
        .size:           8
        .value_kind:     by_value
      - .address_space:  global
        .offset:         48
        .size:           8
        .value_kind:     global_buffer
      - .address_space:  global
        .offset:         56
        .size:           8
        .value_kind:     global_buffer
      - .address_space:  global
        .offset:         64
        .size:           8
        .value_kind:     global_buffer
      - .address_space:  global
        .offset:         72
        .size:           8
        .value_kind:     global_buffer
      - .offset:         80
        .size:           4
        .value_kind:     by_value
      - .address_space:  global
        .offset:         88
        .size:           8
        .value_kind:     global_buffer
      - .address_space:  global
        .offset:         96
        .size:           8
        .value_kind:     global_buffer
    .group_segment_fixed_size: 5940
    .kernarg_segment_align: 8
    .kernarg_segment_size: 104
    .language:       OpenCL C
    .language_version:
      - 2
      - 0
    .max_flat_workgroup_size: 165
    .name:           bluestein_single_back_len1485_dim1_half_op_CI_CI
    .private_segment_fixed_size: 0
    .sgpr_count:     27
    .sgpr_spill_count: 0
    .symbol:         bluestein_single_back_len1485_dim1_half_op_CI_CI.kd
    .uniform_work_group_size: 1
    .uses_dynamic_stack: false
    .vgpr_count:     153
    .vgpr_spill_count: 0
    .wavefront_size: 64
amdhsa.target:   amdgcn-amd-amdhsa--gfx906
amdhsa.version:
  - 1
  - 2
...

	.end_amdgpu_metadata
